;; amdgpu-corpus repo=ROCm/rocFFT kind=compiled arch=gfx950 opt=O3
	.text
	.amdgcn_target "amdgcn-amd-amdhsa--gfx950"
	.amdhsa_code_object_version 6
	.protected	bluestein_single_back_len1600_dim1_sp_op_CI_CI ; -- Begin function bluestein_single_back_len1600_dim1_sp_op_CI_CI
	.globl	bluestein_single_back_len1600_dim1_sp_op_CI_CI
	.p2align	8
	.type	bluestein_single_back_len1600_dim1_sp_op_CI_CI,@function
bluestein_single_back_len1600_dim1_sp_op_CI_CI: ; @bluestein_single_back_len1600_dim1_sp_op_CI_CI
; %bb.0:
	s_load_dwordx4 s[8:11], s[0:1], 0x28
	v_mul_u32_u24_e32 v1, 0x290, v0
	v_lshrrev_b32_e32 v6, 16, v1
	v_mov_b32_e32 v111, 0
	v_lshl_add_u32 v116, s2, 1, v6
	v_mov_b32_e32 v117, v111
	s_waitcnt lgkmcnt(0)
	v_cmp_gt_u64_e32 vcc, s[8:9], v[116:117]
	s_and_saveexec_b64 s[2:3], vcc
	s_cbranch_execz .LBB0_23
; %bb.1:
	s_load_dwordx4 s[4:7], s[0:1], 0x18
	s_load_dwordx2 s[16:17], s[0:1], 0x0
	v_mul_lo_u16_e32 v1, 0x64, v6
	v_sub_u16_e32 v110, v0, v1
	v_mov_b32_e32 v2, s10
	s_waitcnt lgkmcnt(0)
	s_load_dwordx4 s[12:15], s[4:5], 0x0
	v_mov_b32_e32 v3, s11
	v_or_b32_e32 v165, 0x280, v110
	v_lshlrev_b32_e32 v10, 3, v110
	v_mov_b32_e32 v7, 0xa00
	s_waitcnt lgkmcnt(0)
	v_mad_u64_u32 v[0:1], s[2:3], s14, v116, 0
	v_mov_b32_e32 v4, v1
	v_mad_u64_u32 v[4:5], s[2:3], s15, v116, v[4:5]
	v_mov_b32_e32 v1, v4
	;; [unrolled: 2-line block ×3, first 2 shown]
	v_mad_u64_u32 v[8:9], s[2:3], s13, v110, v[8:9]
	s_mul_i32 s2, s13, 0xa0
	s_mul_hi_u32 s3, s12, 0xa0
	v_mov_b32_e32 v5, v8
	v_lshl_add_u64 v[8:9], v[0:1], 3, v[2:3]
	s_add_i32 s3, s3, s2
	s_mul_i32 s2, s12, 0xa0
	v_lshl_add_u64 v[0:1], v[4:5], 3, v[8:9]
	s_lshl_b64 s[18:19], s[2:3], 3
	v_lshl_add_u64 v[2:3], v[0:1], 0, s[18:19]
	v_lshl_add_u64 v[4:5], v[2:3], 0, s[18:19]
	v_lshl_add_u64 v[12:13], v[4:5], 0, s[18:19]
	global_load_dwordx2 v[14:15], v[0:1], off
	global_load_dwordx2 v[16:17], v[2:3], off
	;; [unrolled: 1-line block ×4, first 2 shown]
	global_load_dwordx2 v[132:133], v10, s[16:17]
	global_load_dwordx2 v[130:131], v10, s[16:17] offset:1280
	global_load_dwordx2 v[126:127], v10, s[16:17] offset:2560
	;; [unrolled: 1-line block ×3, first 2 shown]
	v_mad_u64_u32 v[0:1], s[2:3], s12, v165, 0
	v_mov_b32_e32 v2, v1
	v_mad_u64_u32 v[2:3], s[2:3], s13, v165, v[2:3]
	v_mov_b32_e32 v1, v2
	v_lshl_add_u64 v[0:1], v[0:1], 3, v[8:9]
	v_mov_b32_e32 v11, v111
	global_load_dwordx2 v[22:23], v[0:1], off
	v_mad_u64_u32 v[0:1], s[2:3], s12, v7, v[12:13]
	v_lshl_add_u64 v[108:109], s[16:17], 0, v[10:11]
	s_mul_i32 s4, s13, 0xa00
	s_movk_i32 s2, 0x1000
	v_add_u32_e32 v1, s4, v1
	v_add_co_u32_e32 v2, vcc, s2, v108
	global_load_dwordx2 v[12:13], v[0:1], off
	s_nop 0
	v_addc_co_u32_e32 v3, vcc, 0, v109, vcc
	v_lshl_add_u64 v[0:1], v[0:1], 0, s[18:19]
	s_movk_i32 s2, 0x2000
	v_or_b32_e32 v164, 0x500, v110
	v_lshlrev_b32_e32 v144, 3, v165
	global_load_dwordx2 v[24:25], v[0:1], off
	global_load_dwordx2 v[128:129], v144, s[16:17]
	global_load_dwordx2 v[124:125], v[2:3], off offset:2304
	global_load_dwordx2 v[118:119], v[2:3], off offset:3584
	v_lshl_add_u64 v[4:5], v[0:1], 0, s[18:19]
	v_add_co_u32_e32 v0, vcc, s2, v108
	v_mad_u64_u32 v[28:29], s[2:3], s12, v164, 0
	v_mov_b32_e32 v30, v29
	v_mad_u64_u32 v[30:31], s[2:3], s13, v164, v[30:31]
	v_addc_co_u32_e32 v1, vcc, 0, v109, vcc
	v_mov_b32_e32 v29, v30
	global_load_dwordx2 v[26:27], v[4:5], off
	global_load_dwordx2 v[122:123], v[0:1], off offset:768
	v_lshl_add_u64 v[8:9], v[28:29], 3, v[8:9]
	v_lshlrev_b32_e32 v145, 3, v164
	global_load_dwordx2 v[28:29], v[8:9], off
	global_load_dwordx2 v[114:115], v145, s[16:17]
	v_mad_u64_u32 v[4:5], s[2:3], s12, v7, v[4:5]
	v_add_u32_e32 v5, s4, v5
	global_load_dwordx2 v[112:113], v[0:1], off offset:3328
	global_load_dwordx2 v[30:31], v[4:5], off
	v_and_b32_e32 v6, 1, v6
	v_mov_b32_e32 v7, 0x3200
	v_cmp_eq_u32_e32 vcc, 1, v6
	s_load_dwordx2 s[14:15], s[0:1], 0x38
	s_load_dwordx4 s[8:11], s[6:7], 0x0
	v_cndmask_b32_e32 v166, 0, v7, vcc
	v_add_u32_e32 v117, v166, v10
	v_cmp_lt_u16_e64 s[2:3], 59, v110
	v_cmp_gt_u16_e64 s[4:5], 60, v110
	s_waitcnt vmcnt(15)
	v_mul_f32_e32 v6, v15, v133
	v_mul_f32_e32 v7, v14, v133
	s_waitcnt vmcnt(14)
	v_mul_f32_e32 v8, v17, v131
	v_mul_f32_e32 v9, v16, v131
	v_fmac_f32_e32 v6, v14, v132
	v_fma_f32 v7, v15, v132, -v7
	v_fmac_f32_e32 v8, v16, v130
	v_fma_f32 v9, v17, v130, -v9
	ds_write2_b64 v117, v[6:7], v[8:9] offset1:160
	s_waitcnt vmcnt(13)
	v_mul_f32_e32 v6, v18, v127
	v_mul_f32_e32 v8, v19, v127
	v_fma_f32 v9, v19, v126, -v6
	s_waitcnt vmcnt(12)
	v_mul_f32_e32 v10, v21, v121
	v_mul_f32_e32 v6, v20, v121
	v_fmac_f32_e32 v8, v18, v126
	v_fmac_f32_e32 v10, v20, v120
	v_fma_f32 v11, v21, v120, -v6
	v_add_u32_e32 v6, 0x800, v117
	ds_write2_b64 v6, v[8:9], v[10:11] offset0:64 offset1:224
	s_waitcnt vmcnt(8)
	v_mul_f32_e32 v7, v22, v129
	v_mul_f32_e32 v8, v23, v129
	v_fma_f32 v9, v23, v128, -v7
	s_waitcnt vmcnt(7)
	v_mul_f32_e32 v10, v13, v125
	v_mul_f32_e32 v7, v12, v125
	v_fmac_f32_e32 v8, v22, v128
	v_fmac_f32_e32 v10, v12, v124
	v_fma_f32 v11, v13, v124, -v7
	v_add_u32_e32 v7, 0x1400, v117
	ds_write2_b64 v7, v[8:9], v[10:11] offset1:160
	s_waitcnt vmcnt(6)
	v_mul_f32_e32 v8, v24, v119
	v_mul_f32_e32 v10, v25, v119
	v_fma_f32 v11, v25, v118, -v8
	v_fmac_f32_e32 v10, v24, v118
	s_waitcnt vmcnt(4)
	v_mul_f32_e32 v12, v27, v123
	v_mul_f32_e32 v8, v26, v123
	v_fmac_f32_e32 v12, v26, v122
	v_fma_f32 v13, v27, v122, -v8
	v_add_u32_e32 v8, 0x1c00, v117
	s_waitcnt vmcnt(2)
	v_mul_f32_e32 v9, v28, v115
	ds_write2_b64 v8, v[10:11], v[12:13] offset0:64 offset1:224
	v_mul_f32_e32 v10, v29, v115
	v_fma_f32 v11, v29, v114, -v9
	s_waitcnt vmcnt(0)
	v_mul_f32_e32 v12, v31, v113
	v_mul_f32_e32 v9, v30, v113
	v_fmac_f32_e32 v10, v28, v114
	v_fmac_f32_e32 v12, v30, v112
	v_fma_f32 v13, v31, v112, -v9
	v_add_u32_e32 v9, 0x2800, v117
	ds_write2_b64 v9, v[10:11], v[12:13] offset1:160
	s_and_saveexec_b64 s[6:7], s[4:5]
	s_cbranch_execz .LBB0_3
; %bb.2:
	v_mov_b32_e32 v10, 0xffffd620
	s_mulk_i32 s13, 0xd620
	v_mad_u64_u32 v[4:5], s[20:21], s12, v10, v[4:5]
	s_sub_i32 s12, s13, s12
	v_add_u32_e32 v5, s12, v5
	global_load_dwordx2 v[10:11], v[4:5], off
	global_load_dwordx2 v[12:13], v[108:109], off offset:800
	v_lshl_add_u64 v[4:5], v[4:5], 0, s[18:19]
	global_load_dwordx2 v[14:15], v[4:5], off
	global_load_dwordx2 v[16:17], v[108:109], off offset:2080
	v_lshl_add_u64 v[4:5], v[4:5], 0, s[18:19]
	global_load_dwordx2 v[18:19], v[4:5], off
	global_load_dwordx2 v[20:21], v[108:109], off offset:3360
	global_load_dwordx2 v[22:23], v[2:3], off offset:544
	v_lshl_add_u64 v[4:5], v[4:5], 0, s[18:19]
	global_load_dwordx2 v[24:25], v[4:5], off
	v_lshl_add_u64 v[4:5], v[4:5], 0, s[18:19]
	global_load_dwordx2 v[26:27], v[4:5], off
	global_load_dwordx2 v[28:29], v[2:3], off offset:1824
	v_lshl_add_u64 v[4:5], v[4:5], 0, s[18:19]
	global_load_dwordx2 v[30:31], v[4:5], off
	global_load_dwordx2 v[32:33], v[2:3], off offset:3104
	;; [unrolled: 3-line block ×3, first 2 shown]
	global_load_dwordx2 v[36:37], v[0:1], off offset:1568
	global_load_dwordx2 v[38:39], v[0:1], off offset:2848
	v_lshl_add_u64 v[0:1], v[2:3], 0, s[18:19]
	global_load_dwordx2 v[2:3], v[0:1], off
	v_add_co_u32_e32 v40, vcc, 0x3000, v108
	v_lshl_add_u64 v[0:1], v[0:1], 0, s[18:19]
	global_load_dwordx2 v[42:43], v[0:1], off
	v_addc_co_u32_e32 v41, vcc, 0, v109, vcc
	v_lshl_add_u64 v[0:1], v[0:1], 0, s[18:19]
	global_load_dwordx2 v[40:41], v[40:41], off offset:32
	v_add_u32_e32 v46, 0x200, v117
	global_load_dwordx2 v[0:1], v[0:1], off
	v_add_u32_e32 v47, 0xc00, v117
	v_add_u32_e32 v49, 0x2000, v117
	;; [unrolled: 1-line block ×3, first 2 shown]
	s_waitcnt vmcnt(18)
	v_mul_f32_e32 v44, v11, v13
	v_mul_f32_e32 v13, v10, v13
	v_fmac_f32_e32 v44, v10, v12
	v_fma_f32 v45, v11, v12, -v13
	s_waitcnt vmcnt(16)
	v_mul_f32_e32 v10, v15, v17
	v_mul_f32_e32 v11, v14, v17
	v_fmac_f32_e32 v10, v14, v16
	v_fma_f32 v11, v15, v16, -v11
	s_waitcnt vmcnt(14)
	v_mul_f32_e32 v12, v19, v21
	v_mul_f32_e32 v13, v18, v21
	ds_write2_b64 v46, v[44:45], v[10:11] offset0:36 offset1:196
	s_waitcnt vmcnt(12)
	v_mul_f32_e32 v10, v25, v23
	v_mul_f32_e32 v11, v24, v23
	v_fmac_f32_e32 v12, v18, v20
	v_fma_f32 v13, v19, v20, -v13
	v_fmac_f32_e32 v10, v24, v22
	v_fma_f32 v11, v25, v22, -v11
	ds_write2_b64 v47, v[12:13], v[10:11] offset0:36 offset1:196
	s_waitcnt vmcnt(6)
	v_mul_f32_e32 v12, v5, v35
	v_mul_f32_e32 v13, v4, v35
	v_fmac_f32_e32 v12, v4, v34
	v_fma_f32 v13, v5, v34, -v13
	s_waitcnt vmcnt(3)
	v_mul_f32_e32 v4, v3, v37
	v_mul_f32_e32 v5, v2, v37
	v_fmac_f32_e32 v4, v2, v36
	v_fma_f32 v5, v3, v36, -v5
	v_mul_f32_e32 v14, v27, v29
	v_mul_f32_e32 v15, v26, v29
	;; [unrolled: 1-line block ×4, first 2 shown]
	s_waitcnt vmcnt(2)
	v_mul_f32_e32 v2, v43, v39
	v_mul_f32_e32 v3, v42, v39
	ds_write2_b64 v49, v[12:13], v[4:5] offset0:36 offset1:196
	s_waitcnt vmcnt(0)
	v_mul_f32_e32 v4, v1, v41
	v_mul_f32_e32 v5, v0, v41
	v_fmac_f32_e32 v14, v26, v28
	v_fma_f32 v15, v27, v28, -v15
	v_fmac_f32_e32 v10, v30, v32
	v_fma_f32 v11, v31, v32, -v11
	v_fmac_f32_e32 v2, v42, v38
	v_fma_f32 v3, v43, v38, -v3
	v_fmac_f32_e32 v4, v0, v40
	v_fma_f32 v5, v1, v40, -v5
	v_add_u32_e32 v0, 0x2a00, v117
	ds_write2_b64 v48, v[14:15], v[10:11] offset0:36 offset1:196
	ds_write2_b64 v0, v[2:3], v[4:5] offset0:36 offset1:196
.LBB0_3:
	s_or_b64 exec, exec, s[6:7]
	s_waitcnt lgkmcnt(0)
	s_barrier
	ds_read2_b64 v[24:27], v117 offset1:160
	ds_read2_b64 v[32:35], v6 offset0:64 offset1:224
	ds_read2_b64 v[36:39], v7 offset1:160
	ds_read2_b64 v[20:23], v8 offset0:64 offset1:224
	ds_read2_b64 v[28:31], v9 offset1:160
	s_load_dwordx2 s[0:1], s[0:1], 0x8
                                        ; implicit-def: $vgpr16
                                        ; implicit-def: $vgpr8
                                        ; implicit-def: $vgpr4
                                        ; implicit-def: $vgpr12
                                        ; implicit-def: $vgpr0
	s_and_saveexec_b64 s[6:7], s[4:5]
	s_cbranch_execz .LBB0_5
; %bb.4:
	v_add_u32_e32 v8, 0x1600, v117
	v_add_u32_e32 v0, 0x200, v117
	;; [unrolled: 1-line block ×3, first 2 shown]
	ds_read2_b64 v[12:15], v8 offset0:36 offset1:196
	v_add_u32_e32 v8, 0x2000, v117
	v_add_u32_e32 v16, 0x2a00, v117
	ds_read2_b64 v[0:3], v0 offset0:36 offset1:196
	ds_read2_b64 v[4:7], v4 offset0:36 offset1:196
	;; [unrolled: 1-line block ×4, first 2 shown]
.LBB0_5:
	s_or_b64 exec, exec, s[6:7]
	s_mov_b64 s[6:7], 0x64
	s_waitcnt lgkmcnt(0)
	v_pk_add_f32 v[40:41], v[8:9], v[12:13]
	v_pk_add_f32 v[46:47], v[4:5], v[16:17] neg_lo:[0,1] neg_hi:[0,1]
	s_mov_b32 s18, 0x3f737871
	v_lshl_add_u64 v[44:45], v[110:111], 0, s[6:7]
	v_pk_add_f32 v[48:49], v[12:13], v[8:9] neg_lo:[0,1] neg_hi:[0,1]
	v_pk_add_f32 v[42:43], v[4:5], v[12:13] neg_lo:[0,1] neg_hi:[0,1]
	;; [unrolled: 1-line block ×3, first 2 shown]
	v_pk_fma_f32 v[40:41], v[40:41], 0.5, v[0:1] op_sel_hi:[1,0,1] neg_lo:[1,0,0] neg_hi:[1,0,0]
	v_pk_mul_f32 v[64:65], v[46:47], s[18:19] op_sel_hi:[1,0]
	s_mov_b32 s6, 0x3f167918
	v_pk_add_f32 v[52:53], v[14:15], v[10:11]
	v_pk_add_f32 v[54:55], v[6:7], v[18:19] neg_lo:[0,1] neg_hi:[0,1]
	v_pk_mul_f32 v[66:67], v[48:49], s[6:7] op_sel_hi:[1,0]
	v_pk_add_f32 v[68:69], v[50:51], v[42:43]
	v_pk_add_f32 v[42:43], v[40:41], v[64:65] op_sel:[0,1] op_sel_hi:[1,0]
	v_pk_add_f32 v[40:41], v[40:41], v[64:65] op_sel:[0,1] op_sel_hi:[1,0] neg_lo:[0,1] neg_hi:[0,1]
	v_pk_add_f32 v[56:57], v[14:15], v[10:11] neg_lo:[0,1] neg_hi:[0,1]
	v_pk_add_f32 v[60:61], v[6:7], v[14:15] neg_lo:[0,1] neg_hi:[0,1]
	;; [unrolled: 1-line block ×3, first 2 shown]
	v_pk_add_f32 v[64:65], v[40:41], v[66:67] op_sel:[0,1] op_sel_hi:[1,0] neg_lo:[0,1] neg_hi:[0,1]
	v_pk_add_f32 v[66:67], v[42:43], v[66:67] op_sel:[0,1] op_sel_hi:[1,0]
	v_pk_fma_f32 v[42:43], v[52:53], 0.5, v[2:3] op_sel_hi:[1,0,1] neg_lo:[1,0,0] neg_hi:[1,0,0]
	v_pk_mul_f32 v[50:51], v[54:55], s[18:19] op_sel_hi:[1,0]
	v_pk_mul_f32 v[52:53], v[56:57], s[6:7] op_sel_hi:[1,0]
	v_pk_add_f32 v[60:61], v[62:63], v[60:61]
	v_pk_add_f32 v[62:63], v[42:43], v[50:51] op_sel:[0,1] op_sel_hi:[1,0]
	v_pk_add_f32 v[42:43], v[42:43], v[50:51] op_sel:[0,1] op_sel_hi:[1,0] neg_lo:[0,1] neg_hi:[0,1]
	v_pk_add_f32 v[62:63], v[62:63], v[52:53] op_sel:[0,1] op_sel_hi:[1,0]
	v_pk_add_f32 v[70:71], v[42:43], v[52:53] op_sel:[0,1] op_sel_hi:[1,0] neg_lo:[0,1] neg_hi:[0,1]
	s_mov_b32 s12, 0x3e9e377a
	v_mov_b32_e32 v42, v62
	v_mov_b32_e32 v43, v71
	v_pk_fma_f32 v[50:51], v[60:61], s[12:13], v[42:43] op_sel_hi:[1,0,1]
	s_mov_b32 s20, 0x3f4f1bbd
	v_pk_mul_f32 v[52:53], v[50:51], s[6:7] op_sel_hi:[1,0]
	v_pk_mul_f32 v[48:49], v[48:49], s[18:19] op_sel_hi:[1,0]
	v_pk_fma_f32 v[42:43], v[50:51], s[20:21], v[52:53] op_sel:[0,0,1] op_sel_hi:[1,0,0]
	v_pk_fma_f32 v[50:51], v[50:51], s[20:21], v[52:53] op_sel:[0,0,1] op_sel_hi:[1,0,0] neg_lo:[0,0,1] neg_hi:[0,0,1]
	v_pk_add_f32 v[52:53], v[12:13], v[4:5] neg_lo:[0,1] neg_hi:[0,1]
	v_mov_b32_e32 v43, v51
	v_pk_add_f32 v[50:51], v[16:17], v[4:5]
	v_pk_add_f32 v[72:73], v[8:9], v[16:17] neg_lo:[0,1] neg_hi:[0,1]
	v_pk_fma_f32 v[50:51], v[50:51], 0.5, v[0:1] op_sel_hi:[1,0,1] neg_lo:[1,0,0] neg_hi:[1,0,0]
	v_pk_mul_f32 v[46:47], v[46:47], s[6:7] op_sel_hi:[1,0]
	v_pk_add_f32 v[52:53], v[72:73], v[52:53]
	v_pk_add_f32 v[72:73], v[50:51], v[48:49] op_sel:[0,1] op_sel_hi:[1,0] neg_lo:[0,1] neg_hi:[0,1]
	v_pk_add_f32 v[48:49], v[50:51], v[48:49] op_sel:[0,1] op_sel_hi:[1,0]
	v_pk_mul_f32 v[56:57], v[56:57], s[18:19] op_sel_hi:[1,0]
	v_pk_add_f32 v[50:51], v[48:49], v[46:47] op_sel:[0,1] op_sel_hi:[1,0] neg_lo:[0,1] neg_hi:[0,1]
	v_pk_add_f32 v[48:49], v[18:19], v[6:7]
	v_pk_add_f32 v[74:75], v[14:15], v[6:7] neg_lo:[0,1] neg_hi:[0,1]
	v_pk_fma_f32 v[48:49], v[48:49], 0.5, v[2:3] op_sel_hi:[1,0,1] neg_lo:[1,0,0] neg_hi:[1,0,0]
	v_pk_add_f32 v[76:77], v[10:11], v[18:19] neg_lo:[0,1] neg_hi:[0,1]
	v_pk_mul_f32 v[54:55], v[54:55], s[6:7] op_sel_hi:[1,0]
	v_pk_add_f32 v[74:75], v[76:77], v[74:75]
	v_pk_add_f32 v[76:77], v[48:49], v[56:57] op_sel:[0,1] op_sel_hi:[1,0] neg_lo:[0,1] neg_hi:[0,1]
	v_pk_add_f32 v[48:49], v[48:49], v[56:57] op_sel:[0,1] op_sel_hi:[1,0]
	v_pk_add_f32 v[72:73], v[72:73], v[46:47] op_sel:[0,1] op_sel_hi:[1,0]
	v_pk_add_f32 v[56:57], v[48:49], v[54:55] op_sel:[0,1] op_sel_hi:[1,0] neg_lo:[0,1] neg_hi:[0,1]
	v_pk_add_f32 v[54:55], v[76:77], v[54:55] op_sel:[0,1] op_sel_hi:[1,0]
	v_mov_b32_e32 v46, v72
	v_mov_b32_e32 v47, v51
	;; [unrolled: 1-line block ×6, first 2 shown]
	v_pk_fma_f32 v[46:47], v[52:53], s[12:13], v[46:47] op_sel_hi:[1,0,1]
	v_pk_fma_f32 v[50:51], v[52:53], s[12:13], v[50:51] op_sel_hi:[1,0,1]
	;; [unrolled: 1-line block ×4, first 2 shown]
	s_mov_b32 s22, 0xbf167918
	s_mov_b32 s23, s6
	v_pk_mul_f32 v[60:61], v[56:57], s[20:21] op_sel_hi:[1,0]
	v_mov_b32_e32 v41, v65
	v_mov_b32_e32 v48, v54
	s_mov_b32 s24, 0xbf737871
	s_mov_b32 s25, s18
	v_pk_mul_f32 v[54:55], v[52:53], s[12:13] op_sel_hi:[1,0]
	v_mov_b32_e32 v65, v67
	v_pk_fma_f32 v[56:57], v[56:57], s[22:23], v[60:61] op_sel:[0,0,1] op_sel_hi:[1,1,0] neg_lo:[0,0,1] neg_hi:[0,0,1]
	v_pk_add_f32 v[60:61], v[36:37], v[20:21]
	v_pk_add_f32 v[62:63], v[32:33], v[28:29] neg_lo:[0,1] neg_hi:[0,1]
	v_mov_b32_e32 v40, v66
	v_pk_fma_f32 v[54:55], v[52:53], s[24:25], v[54:55] op_sel:[0,0,1] op_sel_hi:[1,1,0] neg_lo:[0,0,1] neg_hi:[0,0,1]
	v_pk_fma_f32 v[52:53], v[68:69], s[12:13], v[64:65] op_sel_hi:[1,0,1]
	v_pk_fma_f32 v[60:61], v[60:61], 0.5, v[24:25] op_sel_hi:[1,0,1] neg_lo:[1,0,0] neg_hi:[1,0,0]
	v_pk_mul_f32 v[64:65], v[62:63], s[18:19] op_sel_hi:[1,0]
	v_pk_add_f32 v[66:67], v[36:37], v[20:21] neg_lo:[0,1] neg_hi:[0,1]
	v_pk_add_f32 v[70:71], v[32:33], v[36:37] neg_lo:[0,1] neg_hi:[0,1]
	;; [unrolled: 1-line block ×3, first 2 shown]
	v_pk_fma_f32 v[40:41], v[68:69], s[12:13], v[40:41] op_sel_hi:[1,0,1]
	v_pk_mul_f32 v[68:69], v[66:67], s[6:7] op_sel_hi:[1,0]
	v_pk_add_f32 v[70:71], v[70:71], v[72:73]
	v_pk_add_f32 v[72:73], v[60:61], v[64:65] op_sel:[0,1] op_sel_hi:[1,0]
	v_pk_add_f32 v[60:61], v[60:61], v[64:65] op_sel:[0,1] op_sel_hi:[1,0] neg_lo:[0,1] neg_hi:[0,1]
	v_pk_add_f32 v[58:59], v[24:25], v[32:33]
	v_pk_fma_f32 v[76:77], v[74:75], s[12:13], v[48:49] op_sel_hi:[1,0,1]
	v_pk_add_f32 v[74:75], v[60:61], v[68:69] op_sel:[0,1] op_sel_hi:[1,0] neg_lo:[0,1] neg_hi:[0,1]
	v_pk_add_f32 v[60:61], v[36:37], v[32:33] neg_lo:[0,1] neg_hi:[0,1]
	v_pk_add_f32 v[32:33], v[32:33], v[28:29]
	v_pk_add_f32 v[36:37], v[58:59], v[36:37]
	v_pk_fma_f32 v[24:25], v[32:33], 0.5, v[24:25] op_sel_hi:[1,0,1] neg_lo:[1,0,0] neg_hi:[1,0,0]
	v_pk_mul_f32 v[32:33], v[66:67], s[18:19] op_sel_hi:[1,0]
	v_pk_mul_f32 v[78:79], v[76:77], s[18:19] op_sel_hi:[1,0]
	v_pk_add_f32 v[64:65], v[20:21], v[28:29] neg_lo:[0,1] neg_hi:[0,1]
	v_pk_add_f32 v[66:67], v[24:25], v[32:33] op_sel:[0,1] op_sel_hi:[1,0] neg_lo:[0,1] neg_hi:[0,1]
	v_pk_add_f32 v[24:25], v[24:25], v[32:33] op_sel:[0,1] op_sel_hi:[1,0]
	v_pk_add_f32 v[32:33], v[26:27], v[34:35]
	v_pk_add_f32 v[20:21], v[36:37], v[20:21]
	v_pk_fma_f32 v[48:49], v[76:77], s[12:13], v[78:79] op_sel:[0,0,1] op_sel_hi:[1,0,0]
	v_pk_fma_f32 v[76:77], v[76:77], s[12:13], v[78:79] op_sel:[0,0,1] op_sel_hi:[1,0,0] neg_lo:[0,0,1] neg_hi:[0,0,1]
	v_pk_add_f32 v[28:29], v[20:21], v[28:29]
	v_pk_add_f32 v[20:21], v[32:33], v[38:39]
	v_mov_b32_e32 v49, v77
	v_pk_add_f32 v[68:69], v[72:73], v[68:69] op_sel:[0,1] op_sel_hi:[1,0]
	v_pk_add_f32 v[64:65], v[60:61], v[64:65]
	v_pk_add_f32 v[72:73], v[34:35], v[30:31] neg_lo:[0,1] neg_hi:[0,1]
	v_pk_add_f32 v[76:77], v[38:39], v[22:23] neg_lo:[0,1] neg_hi:[0,1]
	v_pk_add_f32 v[60:61], v[34:35], v[30:31]
	v_pk_add_f32 v[82:83], v[38:39], v[34:35] neg_lo:[0,1] neg_hi:[0,1]
	v_pk_add_f32 v[84:85], v[22:23], v[30:31] neg_lo:[0,1] neg_hi:[0,1]
	v_pk_add_f32 v[20:21], v[20:21], v[22:23]
	v_pk_add_f32 v[34:35], v[34:35], v[38:39] neg_lo:[0,1] neg_hi:[0,1]
	v_pk_add_f32 v[36:37], v[38:39], v[22:23]
	v_pk_add_f32 v[22:23], v[30:31], v[22:23] neg_lo:[0,1] neg_hi:[0,1]
	v_pk_fma_f32 v[60:61], v[60:61], 0.5, v[26:27] op_sel_hi:[1,0,1] neg_lo:[1,0,0] neg_hi:[1,0,0]
	v_pk_fma_f32 v[26:27], v[36:37], 0.5, v[26:27] op_sel_hi:[1,0,1] neg_lo:[1,0,0] neg_hi:[1,0,0]
	v_pk_add_f32 v[22:23], v[34:35], v[22:23]
	v_pk_mul_f32 v[34:35], v[72:73], s[18:19] op_sel_hi:[1,0]
	v_pk_mul_f32 v[78:79], v[76:77], s[18:19] op_sel_hi:[1,0]
	v_pk_add_f32 v[38:39], v[26:27], v[34:35] op_sel:[0,1] op_sel_hi:[1,0]
	v_pk_mul_f32 v[58:59], v[76:77], s[6:7] op_sel_hi:[1,0]
	v_pk_add_f32 v[26:27], v[26:27], v[34:35] op_sel:[0,1] op_sel_hi:[1,0] neg_lo:[0,1] neg_hi:[0,1]
	v_pk_mul_f32 v[80:81], v[72:73], s[6:7] op_sel_hi:[1,0]
	v_pk_add_f32 v[82:83], v[82:83], v[84:85]
	v_pk_add_f32 v[84:85], v[60:61], v[78:79] op_sel:[0,1] op_sel_hi:[1,0] neg_lo:[0,1] neg_hi:[0,1]
	v_pk_add_f32 v[60:61], v[60:61], v[78:79] op_sel:[0,1] op_sel_hi:[1,0]
	v_pk_add_f32 v[38:39], v[58:59], v[38:39] op_sel:[1,0] op_sel_hi:[0,1]
	v_pk_add_f32 v[26:27], v[26:27], v[58:59] op_sel:[0,1] op_sel_hi:[1,0] neg_lo:[0,1] neg_hi:[0,1]
	v_pk_add_f32 v[78:79], v[60:61], v[80:81] op_sel:[0,1] op_sel_hi:[1,0] neg_lo:[0,1] neg_hi:[0,1]
	v_pk_add_f32 v[60:61], v[84:85], v[80:81] op_sel:[0,1] op_sel_hi:[1,0]
	v_pk_fma_f32 v[34:35], v[22:23], s[12:13], v[26:27] op_sel_hi:[1,0,1]
	v_mov_b32_e32 v27, v39
	v_mov_b32_e32 v80, v60
	;; [unrolled: 1-line block ×6, first 2 shown]
	v_pk_fma_f32 v[68:69], v[22:23], s[12:13], v[38:39] op_sel_hi:[1,0,1]
	v_pk_fma_f32 v[22:23], v[22:23], s[12:13], v[26:27] op_sel_hi:[1,0,1]
	;; [unrolled: 1-line block ×3, first 2 shown]
	v_pk_mul_f32 v[26:27], v[22:23], s[20:21] op_sel_hi:[1,0]
	s_mov_b32 s21, s6
	v_pk_mul_f32 v[84:85], v[80:81], s[18:19] op_sel_hi:[1,0]
	v_pk_mul_f32 v[62:63], v[62:63], s[6:7] op_sel_hi:[1,0]
	v_mov_b32_e32 v79, v61
	v_pk_fma_f32 v[26:27], v[22:23], s[22:23], v[26:27] op_sel:[0,0,1] op_sel_hi:[1,1,0] neg_lo:[0,0,1] neg_hi:[0,0,1]
	v_pk_mul_f32 v[22:23], v[68:69], s[20:21] op_sel_hi:[0,1]
	s_mov_b32 s7, s20
	v_pk_fma_f32 v[86:87], v[80:81], s[12:13], v[84:85] op_sel:[0,0,1] op_sel_hi:[1,0,0]
	v_pk_fma_f32 v[80:81], v[80:81], s[12:13], v[84:85] op_sel:[0,0,1] op_sel_hi:[1,0,0] neg_lo:[0,0,1] neg_hi:[0,0,1]
	v_pk_fma_f32 v[78:79], v[82:83], s[12:13], v[78:79] op_sel_hi:[1,0,1]
	v_pk_fma_f32 v[38:39], v[34:35], s[6:7], v[22:23] op_sel:[1,0,0]
	v_pk_fma_f32 v[22:23], v[34:35], s[6:7], v[22:23] op_sel:[1,0,0] neg_lo:[0,0,1] neg_hi:[0,0,1]
	v_mov_b32_e32 v87, v81
	v_pk_add_f32 v[24:25], v[24:25], v[62:63] op_sel:[0,1] op_sel_hi:[1,0] neg_lo:[0,1] neg_hi:[0,1]
	v_pk_add_f32 v[66:67], v[66:67], v[62:63] op_sel:[0,1] op_sel_hi:[1,0]
	v_mul_lo_u16_e32 v45, 10, v110
	v_pk_mul_f32 v[80:81], v[78:79], s[12:13] op_sel_hi:[1,0]
	v_pk_add_f32 v[32:33], v[20:21], v[30:31]
	v_pk_fma_f32 v[36:37], v[70:71], s[12:13], v[36:37] op_sel_hi:[1,0,1]
	v_pk_fma_f32 v[30:31], v[70:71], s[12:13], v[74:75] op_sel_hi:[1,0,1]
	v_mov_b32_e32 v39, v23
	v_lshl_add_u32 v111, v45, 3, v166
	v_pk_fma_f32 v[78:79], v[78:79], s[24:25], v[80:81] op_sel:[0,0,1] op_sel_hi:[1,1,0] neg_lo:[0,0,1] neg_hi:[0,0,1]
	v_mov_b32_e32 v80, v66
	v_mov_b32_e32 v81, v25
	v_pk_add_f32 v[20:21], v[28:29], v[32:33]
	v_pk_add_f32 v[22:23], v[36:37], v[38:39]
	v_pk_add_f32 v[34:35], v[30:31], v[26:27] op_sel:[1,0] op_sel_hi:[0,1]
	s_barrier
	v_pk_fma_f32 v[80:81], v[64:65], s[12:13], v[80:81] op_sel_hi:[1,0,1]
	v_mov_b32_e32 v25, v67
	ds_write_b128 v111, v[20:23]
	v_pk_add_f32 v[22:23], v[28:29], v[32:33] neg_lo:[0,1] neg_hi:[0,1]
	v_mov_b32_e32 v20, v35
	v_mov_b32_e32 v21, v34
	v_pk_fma_f32 v[24:25], v[64:65], s[12:13], v[24:25] op_sel_hi:[1,0,1]
	ds_write_b128 v111, v[20:23] offset:32
	v_pk_add_f32 v[20:21], v[36:37], v[38:39] neg_lo:[0,1] neg_hi:[0,1]
	v_pk_add_f32 v[22:23], v[80:81], v[86:87] neg_lo:[0,1] neg_hi:[0,1]
	v_pk_add_f32 v[64:65], v[80:81], v[86:87]
	v_pk_add_f32 v[66:67], v[24:25], v[78:79] op_sel:[0,1] op_sel_hi:[1,0]
	ds_write_b128 v111, v[20:23] offset:48
	v_pk_add_f32 v[20:21], v[24:25], v[78:79] op_sel:[0,1] op_sel_hi:[1,0] neg_lo:[0,1] neg_hi:[0,1]
	v_pk_add_f32 v[24:25], v[30:31], v[26:27] op_sel:[1,0] op_sel_hi:[0,1] neg_lo:[0,1] neg_hi:[0,1]
	v_pk_add_f32 v[60:61], v[40:41], v[42:43] neg_lo:[0,1] neg_hi:[0,1]
	v_pk_add_f32 v[62:63], v[46:47], v[48:49] neg_lo:[0,1] neg_hi:[0,1]
	ds_write_b128 v111, v[64:67] offset:16
	v_pk_add_f32 v[64:65], v[50:51], v[54:55] op_sel:[0,1] op_sel_hi:[1,0] neg_lo:[0,1] neg_hi:[0,1]
	v_pk_add_f32 v[66:67], v[52:53], v[56:57] op_sel:[0,1] op_sel_hi:[1,0] neg_lo:[0,1] neg_hi:[0,1]
	v_mov_b32_e32 v22, v25
	v_mov_b32_e32 v23, v24
	v_mul_u32_u24_e32 v168, 10, v44
	ds_write_b128 v111, v[20:23] offset:64
	s_and_saveexec_b64 s[6:7], s[4:5]
	s_cbranch_execz .LBB0_7
; %bb.6:
	v_pk_add_f32 v[0:1], v[4:5], v[0:1]
	v_mov_b32_e32 v20, v55
	v_pk_add_f32 v[0:1], v[12:13], v[0:1]
	v_mov_b32_e32 v21, v54
	v_pk_add_f32 v[0:1], v[8:9], v[0:1]
	v_lshl_add_u32 v24, v168, 3, v166
	v_pk_add_f32 v[4:5], v[16:17], v[0:1]
	v_pk_add_f32 v[0:1], v[6:7], v[2:3]
	;; [unrolled: 1-line block ×4, first 2 shown]
	v_mov_b32_e32 v22, v57
	v_pk_add_f32 v[0:1], v[10:11], v[0:1]
	v_mov_b32_e32 v23, v56
	v_pk_add_f32 v[6:7], v[18:19], v[0:1]
	s_nop 0
	v_pk_add_f32 v[0:1], v[6:7], v[4:5]
	ds_write_b128 v24, v[0:3]
	v_pk_add_f32 v[0:1], v[46:47], v[48:49]
	v_pk_add_f32 v[2:3], v[50:51], v[20:21]
	ds_write_b128 v24, v[0:3] offset:16
	v_pk_add_f32 v[0:1], v[52:53], v[22:23]
	v_pk_add_f32 v[2:3], v[4:5], v[6:7] neg_lo:[0,1] neg_hi:[0,1]
	ds_write_b128 v24, v[0:3] offset:32
	ds_write_b128 v24, v[60:63] offset:48
	;; [unrolled: 1-line block ×3, first 2 shown]
.LBB0_7:
	s_or_b64 exec, exec, s[6:7]
	s_movk_i32 s6, 0xcd
	v_mul_lo_u16_sdwa v0, v110, s6 dst_sel:DWORD dst_unused:UNUSED_PAD src0_sel:BYTE_0 src1_sel:DWORD
	v_lshrrev_b16_e32 v45, 11, v0
	v_mul_lo_u16_e32 v0, 10, v45
	v_sub_u16_e32 v0, v110, v0
	v_and_b32_e32 v90, 0xff, v0
	s_movk_i32 s6, 0x78
	v_mov_b64_e32 v[0:1], s[0:1]
	v_mad_u64_u32 v[0:1], s[6:7], v90, s6, v[0:1]
	s_waitcnt lgkmcnt(0)
	s_barrier
	global_load_dwordx4 v[16:19], v[0:1], off offset:16
	global_load_dwordx4 v[8:11], v[0:1], off
	global_load_dwordx4 v[12:15], v[0:1], off offset:32
	global_load_dwordx4 v[4:7], v[0:1], off offset:48
	global_load_dwordx4 v[40:43], v[0:1], off offset:80
	global_load_dwordx4 v[36:39], v[0:1], off offset:64
	global_load_dwordx4 v[32:35], v[0:1], off offset:96
	global_load_dwordx2 v[134:135], v[0:1], off offset:112
	v_add_u32_e32 v20, 0x400, v117
	v_add_u32_e32 v28, 0x1000, v117
	;; [unrolled: 1-line block ×4, first 2 shown]
	ds_read2_b64 v[0:3], v117 offset1:100
	v_add_u32_e32 v96, 0x800, v117
	v_add_u32_e32 v97, 0x1c00, v117
	;; [unrolled: 1-line block ×3, first 2 shown]
	ds_read2_b64 v[20:23], v20 offset0:72 offset1:172
	ds_read2_b64 v[24:27], v96 offset0:144 offset1:244
	;; [unrolled: 1-line block ×7, first 2 shown]
	s_waitcnt lgkmcnt(7)
	v_add_f32_e32 v59, v0, v0
	s_mov_b32 s6, 0x3f3504f3
	s_mov_b32 s18, 0x3ec3ef15
	;; [unrolled: 1-line block ×5, first 2 shown]
	s_waitcnt lgkmcnt(0)
	s_barrier
	s_waitcnt vmcnt(7)
	v_mul_f32_e32 v74, v24, v18
	v_mul_f32_e32 v24, v24, v19
	s_waitcnt vmcnt(5)
	v_mul_f32_e32 v75, v27, v13
	v_mul_f32_e32 v82, v26, v13
	;; [unrolled: 1-line block ×3, first 2 shown]
	s_waitcnt vmcnt(3)
	v_pk_mul_f32 v[80:81], v[54:55], v[42:43]
	v_mul_f32_e32 v73, v22, v17
	v_mul_f32_e32 v76, v25, v19
	;; [unrolled: 1-line block ×5, first 2 shown]
	s_waitcnt vmcnt(2)
	v_mul_f32_e32 v88, v50, v39
	s_waitcnt vmcnt(1)
	v_mul_f32_e32 v92, v69, v35
	v_mul_f32_e32 v93, v68, v35
	v_fmac_f32_e32 v24, v25, v18
	v_fma_f32 v25, v26, v12, -v75
	v_fmac_f32_e32 v82, v27, v12
	v_fma_f32 v27, v28, v14, -v77
	v_mov_b32_e32 v75, v80
	v_mov_b32_e32 v77, v81
	;; [unrolled: 1-line block ×3, first 2 shown]
	s_waitcnt vmcnt(0)
	v_mul_f32_e32 v78, v70, v135
	v_fmac_f32_e32 v83, v29, v14
	v_fma_f32 v29, v20, v10, -v86
	v_fmac_f32_e32 v87, v21, v10
	v_fmac_f32_e32 v73, v23, v16
	;; [unrolled: 1-line block ×3, first 2 shown]
	v_fma_f32 v16, v68, v34, -v92
	v_fmac_f32_e32 v93, v69, v34
	v_pk_add_f32 v[20:21], v[74:75], v[76:77] neg_lo:[0,1] neg_hi:[0,1]
	v_mul_f32_e32 v84, v31, v5
	v_mul_f32_e32 v72, v30, v5
	v_mul_f32_e32 v94, v71, v135
	v_fmac_f32_e32 v78, v71, v134
	v_sub_f32_e32 v69, v87, v88
	v_sub_f32_e32 v71, v27, v16
	;; [unrolled: 1-line block ×3, first 2 shown]
	v_mov_b32_e32 v16, v21
	v_mul_f32_e32 v79, v52, v41
	v_mul_f32_e32 v89, v57, v33
	;; [unrolled: 1-line block ×3, first 2 shown]
	v_fma_f32 v28, v30, v4, -v84
	v_fmac_f32_e32 v72, v31, v4
	v_fma_f32 v76, v87, 2.0, -v69
	v_pk_add_f32 v[30:31], v[20:21], v[16:17] neg_lo:[0,1] neg_hi:[0,1]
	v_fma_f32 v16, v83, 2.0, -v74
	v_mov_b32_e32 v141, v40
	v_mul_f32_e32 v85, v49, v37
	v_fmac_f32_e32 v79, v53, v40
	v_fma_f32 v40, v56, v32, -v89
	v_fmac_f32_e32 v91, v57, v32
	v_fma_f32 v56, v70, v134, -v94
	v_sub_f32_e32 v80, v76, v16
	v_add_f32_e32 v16, v69, v71
	v_mul_f32_e32 v58, v3, v9
	v_fma_f32 v26, v48, v36, -v85
	v_sub_f32_e32 v70, v82, v91
	v_sub_f32_e32 v77, v28, v56
	v_fma_f32 v91, v69, 2.0, -v16
	v_mul_f32_e32 v56, 0x3f3504f3, v16
	v_mov_b32_e32 v84, v2
	v_mov_b32_e32 v85, v23
	;; [unrolled: 1-line block ×3, first 2 shown]
	v_fma_f32 v58, v2, v8, -v58
	v_pk_mul_f32 v[84:85], v[84:85], v[16:17]
	v_mov_b32_e32 v2, v3
	v_mov_b32_e32 v3, v22
	;; [unrolled: 1-line block ×4, first 2 shown]
	v_pk_fma_f32 v[22:23], v[2:3], v[138:139], v[84:85]
	v_pk_fma_f32 v[2:3], v[2:3], v[138:139], v[84:85] neg_lo:[0,0,1] neg_hi:[0,0,1]
	v_mov_b32_e32 v50, v46
	v_mov_b32_e32 v84, v7
	;; [unrolled: 1-line block ×6, first 2 shown]
	v_pk_mul_f32 v[50:51], v[50:51], v[84:85]
	v_sub_f32_e32 v68, v25, v40
	v_pk_fma_f32 v[84:85], v[86:87], v[6:7], v[50:51]
	v_pk_fma_f32 v[50:51], v[86:87], v[88:89], v[50:51] neg_lo:[0,0,1] neg_hi:[0,0,1]
	v_mov_b32_e32 v40, v37
	v_mov_b32_e32 v50, v49
	;; [unrolled: 1-line block ×6, first 2 shown]
	v_pk_mul_f32 v[48:49], v[48:49], v[40:41]
	v_fma_f32 v57, v27, 2.0, -v71
	v_fma_f32 v81, v28, 2.0, -v77
	v_pk_fma_f32 v[52:53], v[50:51], v[36:37], v[48:49]
	v_pk_fma_f32 v[48:49], v[50:51], v[140:141], v[48:49] neg_lo:[0,0,1] neg_hi:[0,0,1]
	v_mov_b32_e32 v28, v1
	v_mov_b32_e32 v27, 2.0
	v_add_f32_e32 v31, v29, v29
	v_mov_b32_e32 v23, v3
	v_mov_b32_e32 v53, v49
	v_pk_add_f32 v[28:29], v[28:29], v[84:85] neg_lo:[0,1] neg_hi:[0,1]
	v_pk_add_f32 v[26:27], v[58:59], v[26:27] op_sel_hi:[0,1] neg_lo:[0,1] neg_hi:[0,1]
	v_pk_add_f32 v[48:49], v[58:59], v[58:59]
	v_mov_b32_e32 v84, v55
	v_mov_b32_e32 v85, v46
	;; [unrolled: 1-line block ×6, first 2 shown]
	v_pk_add_f32 v[48:49], v[22:23], v[52:53] neg_lo:[0,1] neg_hi:[0,1]
	v_mov_b32_e32 v86, v42
	v_mov_b32_e32 v87, v6
	v_pk_mul_f32 v[46:47], v[54:55], v[46:47]
	v_fma_f32 v83, v1, 2.0, -v28
	v_fma_f32 v1, v22, 2.0, -v48
	v_add_f32_e32 v69, v3, v3
	v_pk_add_f32 v[2:3], v[30:31], v[28:29]
	v_pk_add_f32 v[22:23], v[30:31], v[28:29] neg_lo:[0,1] neg_hi:[0,1]
	v_pk_fma_f32 v[54:55], v[84:85], v[42:43], v[46:47]
	v_pk_fma_f32 v[46:47], v[84:85], v[86:87], v[46:47] neg_lo:[0,0,1] neg_hi:[0,0,1]
	v_fma_f32 v75, v25, 2.0, -v68
	v_mov_b32_e32 v22, v2
	v_mov_b32_e32 v55, v47
	;; [unrolled: 1-line block ×3, first 2 shown]
	v_pk_add_f32 v[50:51], v[22:23], v[56:57] neg_lo:[0,1] neg_hi:[0,1]
	v_pk_add_f32 v[46:47], v[24:25], v[54:55] neg_lo:[0,1] neg_hi:[0,1]
	v_fma_f32 v21, v20, 2.0, -v30
	v_fma_f32 v20, v82, 2.0, -v70
	v_pk_add_f32 v[30:31], v[2:3], v[56:57]
	v_fma_f32 v3, v23, 2.0, -v51
	v_sub_f32_e32 v23, v29, v74
	v_mov_b32_e32 v58, v47
	v_mov_b32_e32 v31, v51
	v_sub_f32_e32 v51, v1, v20
	v_mul_f32_e32 v20, 0x3f3504f3, v23
	v_fma_f32 v0, v24, 2.0, -v46
	v_pk_add_f32 v[24:25], v[58:59], v[46:47] neg_lo:[0,1] neg_hi:[0,1]
	v_fma_f32 v76, v76, 2.0, -v80
	v_pk_add_f32 v[54:55], v[24:25], v[20:21]
	v_pk_add_f32 v[58:59], v[24:25], v[20:21] neg_lo:[0,1] neg_hi:[0,1]
	v_sub_f32_e32 v21, v83, v0
	v_mov_b32_e32 v55, v59
	v_mov_b32_e32 v57, v80
	v_fma_f32 v87, v83, 2.0, -v21
	v_pk_add_f32 v[56:57], v[54:55], v[56:57] neg_lo:[0,1] neg_hi:[0,1]
	v_sub_f32_e32 v89, v87, v76
	v_pk_add_f32 v[54:55], v[72:73], v[78:79] neg_lo:[0,1] neg_hi:[0,1]
	v_mov_b32_e32 v76, v49
	v_fma_f32 v92, v29, 2.0, -v23
	v_mov_b32_e32 v71, v26
	v_add_f32_e32 v29, v25, v25
	v_pk_add_f32 v[30:31], v[20:21], v[30:31]
	v_mov_b32_e32 v23, v21
	v_mov_b32_e32 v25, v59
	;; [unrolled: 1-line block ×3, first 2 shown]
	v_mul_u32_u24_e32 v0, 0xa0, v45
	v_pk_add_f32 v[58:59], v[76:77], v[54:55] neg_lo:[0,1] neg_hi:[0,1]
	v_pk_add_f32 v[52:53], v[26:27], v[70:71] neg_lo:[0,1] neg_hi:[0,1]
	v_pk_add_f32 v[70:71], v[68:69], v[48:49]
	v_pk_fma_f32 v[20:21], v[22:23], 2.0, v[30:31] op_sel_hi:[1,0,1] neg_lo:[0,0,1] neg_hi:[0,0,1]
	v_pk_fma_f32 v[22:23], v[24:25], 2.0, v[56:57] op_sel_hi:[1,0,1] neg_lo:[0,0,1] neg_hi:[0,0,1]
	v_or_b32_e32 v0, v0, v90
	v_fma_f32 v25, v73, 2.0, -v55
	v_fma_f32 v27, v72, 2.0, -v54
	v_pk_add_f32 v[72:73], v[76:77], v[54:55]
	v_mul_f32_e32 v74, 0x3f3504f3, v58
	v_lshl_add_u32 v167, v0, 3, v166
	v_mov_b32_e32 v0, v53
	v_sub_f32_e32 v45, v25, v27
	v_mov_b32_e32 v59, v73
	v_mul_f32_e32 v80, 0x3f3504f3, v73
	v_pk_add_f32 v[72:73], v[52:53], v[74:75]
	v_pk_add_f32 v[76:77], v[52:53], v[74:75] neg_lo:[0,1] neg_hi:[0,1]
	v_mov_b32_e32 v27, v48
	v_mov_b32_e32 v53, v70
	v_mov_b32_e32 v54, v49
	v_pk_add_f32 v[68:69], v[68:69], v[48:49] neg_lo:[0,1] neg_hi:[0,1]
	v_fma_f32 v86, v25, 2.0, -v45
	v_pk_fma_f32 v[26:27], v[26:27], 2.0, v[52:53] op_sel_hi:[1,0,1] neg_lo:[0,0,1] neg_hi:[0,0,1]
	v_pk_fma_f32 v[48:49], v[54:55], 2.0, v[58:59] op_sel_hi:[1,0,1] neg_lo:[0,0,1] neg_hi:[0,0,1]
	v_mov_b32_e32 v46, v47
	v_mov_b32_e32 v47, v28
	;; [unrolled: 1-line block ×4, first 2 shown]
	v_pk_fma_f32 v[24:25], v[46:47], 2.0, v[24:25] op_sel_hi:[1,0,1] neg_lo:[0,0,1] neg_hi:[0,0,1]
	v_pk_mul_f32 v[54:55], v[48:49], s[6:7] op_sel_hi:[1,0]
	v_pk_fma_f32 v[48:49], v[48:49], s[6:7], v[26:27] op_sel_hi:[1,0,1] neg_lo:[1,0,0] neg_hi:[1,0,0]
	v_mul_f32_e32 v82, 0x3f3504f3, v91
	v_mov_b32_e32 v50, v70
	v_pk_add_f32 v[70:71], v[70:71], v[80:81]
	v_pk_add_f32 v[78:79], v[68:69], v[80:81] neg_lo:[0,1] neg_hi:[0,1]
	v_fmamk_f32 v46, v91, 0xbf3504f3, v25
	v_pk_add_f32 v[58:59], v[48:49], v[54:55] op_sel:[0,1] op_sel_hi:[1,0] neg_lo:[0,1] neg_hi:[0,1]
	v_pk_add_f32 v[48:49], v[48:49], v[54:55] op_sel:[0,1] op_sel_hi:[1,0]
	v_fmamk_f32 v28, v92, 0xbf3504f3, v24
	v_mov_b32_e32 v73, v77
	v_mov_b32_e32 v71, v79
	v_fmac_f32_e32 v46, 0x3f3504f3, v92
	v_mov_b32_e32 v59, v49
	v_mov_b32_e32 v81, v45
	;; [unrolled: 1-line block ×3, first 2 shown]
	v_pk_add_f32 v[28:29], v[28:29], v[82:83] neg_lo:[0,1] neg_hi:[0,1]
	v_pk_fma_f32 v[26:27], v[26:27], 2.0, v[58:59] op_sel_hi:[1,0,1] neg_lo:[0,0,1] neg_hi:[0,0,1]
	v_pk_add_f32 v[54:55], v[72:73], v[80:81] neg_lo:[0,1] neg_hi:[0,1]
	v_pk_add_f32 v[72:73], v[74:75], v[70:71]
	v_mov_b32_e32 v53, v77
	v_mov_b32_e32 v92, v28
	;; [unrolled: 1-line block ×3, first 2 shown]
	v_pk_mul_f32 v[70:71], v[26:27], s[18:19] op_sel_hi:[1,0]
	v_pk_fma_f32 v[52:53], v[52:53], 2.0, v[54:55] op_sel_hi:[1,0,1] neg_lo:[0,0,1] neg_hi:[0,0,1]
	v_pk_fma_f32 v[74:75], v[50:51], 2.0, v[72:73] op_sel_hi:[1,0,1] neg_lo:[0,0,1] neg_hi:[0,0,1]
	s_mov_b32 s19, s6
	v_pk_fma_f32 v[24:25], v[24:25], 2.0, v[92:93] op_sel_hi:[1,0,1] neg_lo:[0,0,1] neg_hi:[0,0,1]
	v_fma_f32 v69, v69, 2.0, -v79
	v_pk_mul_f32 v[78:79], v[52:53], s[20:21]
	v_pk_mul_f32 v[80:81], v[74:75], s[18:19]
	v_mul_f32_e32 v2, 0x3ec3ef15, v58
	v_mul_f32_e32 v88, 0x3f6c835e, v58
	v_pk_mul_f32 v[58:59], v[54:55], s[18:19]
	v_pk_fma_f32 v[26:27], v[26:27], s[12:13], v[24:25] op_sel_hi:[1,0,1]
	v_mov_b32_e32 v50, v77
	v_mul_f32_e32 v78, 0x3ec3ef15, v52
	v_mul_f32_e32 v80, 0x3f6c835e, v74
	v_pk_mul_f32 v[90:91], v[72:73], s[20:21]
	v_mul_f32_e32 v58, 0x3f6c835e, v54
	v_pk_fma_f32 v[74:75], v[74:75], s[18:19], v[20:21] neg_lo:[1,0,0] neg_hi:[1,0,0]
	v_pk_add_f32 v[94:95], v[26:27], v[70:71] op_sel:[0,1] op_sel_hi:[1,0] neg_lo:[0,1] neg_hi:[0,1]
	v_pk_add_f32 v[26:27], v[26:27], v[70:71] op_sel:[0,1] op_sel_hi:[1,0]
	v_pk_fma_f32 v[0:1], v[0:1], 2.0, v[50:51] op_sel_hi:[1,0,1] neg_lo:[0,0,1] neg_hi:[0,0,1]
	v_mul_f32_e32 v68, 0x3ec3ef15, v49
	v_mul_f32_e32 v90, 0x3ec3ef15, v72
	v_pk_fma_f32 v[84:85], v[52:53], s[20:21], v[74:75]
	v_pk_add_f32 v[52:53], v[22:23], v[78:79] neg_lo:[0,1] neg_hi:[0,1]
	v_mov_b32_e32 v95, v27
	v_pk_add_f32 v[26:27], v[56:57], v[58:59]
	v_mov_b32_e32 v45, v0
	v_pk_add_f32 v[78:79], v[52:53], v[80:81] neg_lo:[0,1] neg_hi:[0,1]
	v_pk_add_f32 v[52:53], v[28:29], v[2:3]
	v_pk_add_f32 v[2:3], v[28:29], v[2:3] neg_lo:[0,1] neg_hi:[0,1]
	v_pk_add_f32 v[70:71], v[26:27], v[90:91] neg_lo:[0,1] neg_hi:[0,1]
	v_pk_fma_f32 v[26:27], v[72:73], s[20:21], v[30:31]
	v_pk_add_f32 v[50:51], v[44:45], v[68:69] neg_lo:[0,1] neg_hi:[0,1]
	v_mov_b32_e32 v53, v3
	v_pk_fma_f32 v[80:81], v[54:55], s[18:19], v[26:27]
	v_sub_f32_e32 v27, v1, v86
	v_mov_b32_e32 v26, v51
	v_mov_b32_e32 v86, v29
	;; [unrolled: 1-line block ×4, first 2 shown]
	v_pk_fma_f32 v[0:1], v[0:1], 2.0, v[26:27] op_sel_hi:[1,0,1] neg_lo:[0,0,1] neg_hi:[0,0,1]
	v_pk_fma_f32 v[28:29], v[86:87], 2.0, v[2:3] op_sel_hi:[1,0,1] neg_lo:[0,0,1] neg_hi:[0,0,1]
	v_mul_f32_e32 v48, 0x3f6c835e, v49
	v_pk_add_f32 v[0:1], v[28:29], v[0:1] neg_lo:[0,1] neg_hi:[0,1]
	v_pk_fma_f32 v[24:25], v[24:25], 2.0, v[94:95] op_sel_hi:[1,0,1] neg_lo:[0,0,1] neg_hi:[0,0,1]
	v_pk_add_f32 v[46:47], v[46:47], v[68:69]
	v_mov_b32_e32 v49, v27
	v_pk_fma_f32 v[26:27], v[28:29], 2.0, v[0:1] op_sel_hi:[1,0,1] neg_lo:[0,0,1] neg_hi:[0,0,1]
	v_mov_b32_e32 v47, v51
	ds_write2_b64 v167, v[26:27], v[24:25] offset1:10
	v_mov_b32_e32 v24, v23
	v_mov_b32_e32 v25, v21
	;; [unrolled: 1-line block ×7, first 2 shown]
	v_pk_add_f32 v[74:75], v[52:53], v[48:49] neg_lo:[0,1] neg_hi:[0,1]
	v_pk_add_f32 v[82:83], v[88:89], v[46:47]
	v_pk_fma_f32 v[24:25], v[24:25], 2.0, v[26:27] op_sel_hi:[1,0,1] neg_lo:[0,0,1] neg_hi:[0,0,1]
	v_pk_fma_f32 v[22:23], v[22:23], 2.0, v[20:21] op_sel_hi:[1,0,1] neg_lo:[0,0,1] neg_hi:[0,0,1]
	ds_write2_b64 v167, v[24:25], v[22:23] offset0:20 offset1:30
	v_mov_b32_e32 v22, v75
	v_mov_b32_e32 v23, v83
	;; [unrolled: 1-line block ×4, first 2 shown]
	v_pk_fma_f32 v[2:3], v[2:3], 2.0, v[22:23] op_sel_hi:[1,0,1] neg_lo:[0,0,1] neg_hi:[0,0,1]
	v_pk_fma_f32 v[28:29], v[92:93], 2.0, v[24:25] op_sel_hi:[1,0,1] neg_lo:[0,0,1] neg_hi:[0,0,1]
	ds_write2_b64 v167, v[2:3], v[28:29] offset0:40 offset1:50
	v_mov_b32_e32 v2, v57
	v_mov_b32_e32 v3, v31
	;; [unrolled: 1-line block ×7, first 2 shown]
	v_pk_fma_f32 v[2:3], v[2:3], 2.0, v[28:29] op_sel_hi:[1,0,1] neg_lo:[0,0,1] neg_hi:[0,0,1]
	v_pk_fma_f32 v[46:47], v[56:57], 2.0, v[30:31] op_sel_hi:[1,0,1] neg_lo:[0,0,1] neg_hi:[0,0,1]
	ds_write2_b64 v167, v[2:3], v[46:47] offset0:60 offset1:70
	ds_write2_b64 v167, v[0:1], v[94:95] offset0:80 offset1:90
	;; [unrolled: 1-line block ×5, first 2 shown]
	v_add_u32_e32 v0, 0x1400, v117
	s_waitcnt lgkmcnt(0)
	s_barrier
	ds_read2_b64 v[88:91], v117 offset1:160
	ds_read2_b64 v[104:107], v96 offset0:64 offset1:224
	ds_read2_b64 v[100:103], v0 offset1:160
	ds_read2_b64 v[96:99], v97 offset0:64 offset1:224
	ds_read2_b64 v[92:95], v136 offset1:160
	s_and_saveexec_b64 s[6:7], s[2:3]
	s_xor_b64 s[6:7], exec, s[6:7]
	s_andn2_saveexec_b64 s[6:7], s[6:7]
	s_cbranch_execz .LBB0_9
; %bb.8:
	v_add_u32_e32 v0, 0x200, v117
	ds_read2_b64 v[76:79], v0 offset0:36 offset1:196
	v_add_u32_e32 v0, 0xc00, v117
	ds_read2_b64 v[72:75], v0 offset0:36 offset1:196
	;; [unrolled: 2-line block ×5, first 2 shown]
	s_waitcnt lgkmcnt(2)
	v_mov_b32_e32 v80, v71
	v_mov_b32_e32 v81, v69
	;; [unrolled: 1-line block ×9, first 2 shown]
.LBB0_9:
	s_or_b64 exec, exec, s[6:7]
	v_subrev_u32_e32 v0, 60, v110
	v_cndmask_b32_e64 v0, v0, v44, s[4:5]
	v_mul_hi_i32_i24_e32 v1, 0x48, v0
	v_mul_i32_i24_e32 v0, 0x48, v0
	v_lshl_add_u64 v[44:45], s[0:1], 0, v[0:1]
	global_load_dwordx4 v[0:3], v[44:45], off offset:1200
	global_load_dwordx4 v[28:31], v[44:45], off offset:1216
	;; [unrolled: 1-line block ×4, first 2 shown]
	global_load_dwordx2 v[136:137], v[44:45], off offset:1264
	s_movk_i32 s7, 0x48
	v_mov_b64_e32 v[44:45], s[0:1]
	v_mad_u64_u32 v[56:57], s[18:19], v110, s7, v[44:45]
	global_load_dwordx2 v[142:143], v[56:57], off offset:1264
	global_load_dwordx4 v[44:47], v[56:57], off offset:1248
	global_load_dwordx4 v[48:51], v[56:57], off offset:1232
	;; [unrolled: 1-line block ×3, first 2 shown]
	s_nop 0
	global_load_dwordx4 v[56:59], v[56:57], off offset:1200
	v_mov_b32_e32 v76, v71
	v_mov_b32_e32 v86, v81
	;; [unrolled: 1-line block ×4, first 2 shown]
	s_mov_b32 s6, 0x3f737871
	s_mov_b32 s0, 0x3f167918
	;; [unrolled: 1-line block ×5, first 2 shown]
	s_waitcnt vmcnt(9)
	v_pk_mul_f32 v[148:149], v[82:83], v[2:3]
	s_waitcnt vmcnt(8)
	v_pk_mul_f32 v[152:153], v[80:81], v[30:31]
	v_pk_mul_f32 v[154:155], v[70:71], v[30:31]
	;; [unrolled: 1-line block ×3, first 2 shown]
	s_waitcnt vmcnt(7) lgkmcnt(1)
	v_pk_mul_f32 v[156:157], v[60:61], v[26:27] op_sel:[1,0]
	s_waitcnt vmcnt(6)
	v_pk_mul_f32 v[158:159], v[62:63], v[20:21] op_sel:[1,0]
	v_mov_b32_e32 v152, v153
	v_mov_b32_e32 v154, v155
	;; [unrolled: 1-line block ×3, first 2 shown]
	s_waitcnt lgkmcnt(0)
	v_pk_mul_f32 v[160:161], v[64:65], v[22:23] op_sel:[1,0]
	s_waitcnt vmcnt(5)
	v_pk_mul_f32 v[162:163], v[66:67], v[136:137] op_sel:[1,0]
	v_mov_b32_e32 v148, v149
	v_mov_b32_e32 v150, v151
	v_pk_fma_f32 v[172:173], v[60:61], v[26:27], v[156:157] op_sel:[0,0,1] op_sel_hi:[0,1,0] neg_lo:[0,0,1] neg_hi:[0,0,1]
	v_pk_fma_f32 v[60:61], v[60:61], v[26:27], v[156:157] op_sel:[0,0,1] op_sel_hi:[0,1,0]
	v_pk_fma_f32 v[156:157], v[62:63], v[20:21], v[158:159] op_sel:[0,0,1] op_sel_hi:[0,1,0] neg_lo:[0,0,1] neg_hi:[0,0,1]
	v_pk_fma_f32 v[62:63], v[62:63], v[20:21], v[158:159] op_sel:[0,0,1] op_sel_hi:[0,1,0]
	v_pk_fma_f32 v[76:77], v[76:77], v[30:31], v[152:153] neg_lo:[0,0,1] neg_hi:[0,0,1]
	v_pk_fma_f32 v[86:87], v[86:87], v[30:31], v[154:155]
	v_pk_mul_f32 v[170:171], v[84:85], v[146:147]
	v_pk_mul_f32 v[146:147], v[78:79], v[146:147]
	v_pk_fma_f32 v[158:159], v[64:65], v[22:23], v[160:161] op_sel:[0,0,1] op_sel_hi:[0,1,0] neg_lo:[0,0,1] neg_hi:[0,0,1]
	v_pk_fma_f32 v[64:65], v[64:65], v[22:23], v[160:161] op_sel:[0,0,1] op_sel_hi:[0,1,0]
	v_pk_fma_f32 v[160:161], v[66:67], v[136:137], v[162:163] op_sel:[0,0,1] op_sel_hi:[0,1,0] neg_lo:[0,0,1] neg_hi:[0,0,1]
	v_pk_fma_f32 v[66:67], v[66:67], v[136:137], v[162:163] op_sel:[0,0,1] op_sel_hi:[0,1,0]
	v_pk_fma_f32 v[68:69], v[68:69], v[2:3], v[148:149] neg_lo:[0,0,1] neg_hi:[0,0,1]
	v_pk_fma_f32 v[72:73], v[72:73], v[2:3], v[150:151]
	v_add_f32_e32 v62, v76, v172
	v_add_f32_e32 v71, v86, v61
	v_pk_fma_f32 v[146:147], v[84:85], v[0:1], v[146:147]
	v_mov_b32_e32 v159, v65
	v_mov_b32_e32 v84, v79
	v_add_f32_e32 v66, v68, v158
	v_mov_b32_e32 v69, v72
	v_add_f32_e32 v73, v72, v65
	v_mul_f32_e32 v64, 0.5, v62
	v_mul_f32_e32 v65, 0.5, v71
	v_mov_b32_e32 v173, v61
	v_mov_b32_e32 v77, v86
	v_mul_f32_e32 v72, 0.5, v66
	v_pk_add_f32 v[86:87], v[68:69], v[158:159] neg_lo:[0,1] neg_hi:[0,1]
	v_mul_f32_e32 v73, 0.5, v73
	v_pk_add_f32 v[64:65], v[84:85], v[64:65] neg_lo:[0,1] neg_hi:[0,1]
	v_pk_fma_f32 v[162:163], v[78:79], v[0:1], v[170:171] neg_lo:[0,0,1] neg_hi:[0,0,1]
	v_pk_add_f32 v[60:61], v[158:159], v[172:173] neg_lo:[0,1] neg_hi:[0,1]
	v_pk_add_f32 v[78:79], v[84:85], v[68:69]
	v_pk_add_f32 v[148:149], v[76:77], v[172:173] neg_lo:[0,1] neg_hi:[0,1]
	v_pk_add_f32 v[150:151], v[68:69], v[76:77] neg_lo:[0,1] neg_hi:[0,1]
	;; [unrolled: 1-line block ×3, first 2 shown]
	v_pk_fma_f32 v[84:85], v[86:87], s[6:7], v[64:65] op_sel:[1,0,0] op_sel_hi:[0,0,1]
	v_pk_fma_f32 v[64:65], v[86:87], s[6:7], v[64:65] op_sel:[1,0,0] op_sel_hi:[0,0,1] neg_lo:[1,0,0] neg_hi:[1,0,0]
	v_pk_add_f32 v[60:61], v[150:151], v[60:61]
	v_pk_fma_f32 v[150:151], v[148:149], s[6:7], v[72:73] op_sel:[1,0,0] op_sel_hi:[0,0,1] neg_lo:[1,0,0] neg_hi:[1,0,0]
	v_pk_fma_f32 v[72:73], v[148:149], s[6:7], v[72:73] op_sel:[1,0,0] op_sel_hi:[0,0,1]
	v_pk_fma_f32 v[64:65], v[148:149], s[0:1], v[64:65] op_sel:[1,0,0] op_sel_hi:[0,0,1] neg_lo:[1,0,0] neg_hi:[1,0,0]
	v_pk_fma_f32 v[84:85], v[148:149], s[0:1], v[84:85] op_sel:[1,0,0] op_sel_hi:[0,0,1]
	v_pk_add_f32 v[78:79], v[78:79], v[76:77]
	v_pk_fma_f32 v[72:73], v[86:87], s[0:1], v[72:73] op_sel:[1,0,0] op_sel_hi:[0,0,1] neg_lo:[1,0,0] neg_hi:[1,0,0]
	v_pk_fma_f32 v[86:87], v[86:87], s[0:1], v[150:151] op_sel:[1,0,0] op_sel_hi:[0,0,1]
	v_mov_b32_e32 v148, v84
	v_mov_b32_e32 v149, v65
	;; [unrolled: 1-line block ×3, first 2 shown]
	v_pk_add_f32 v[68:69], v[76:77], v[68:69] neg_lo:[0,1] neg_hi:[0,1]
	v_pk_add_f32 v[76:77], v[172:173], v[158:159] neg_lo:[0,1] neg_hi:[0,1]
	v_pk_fma_f32 v[84:85], v[60:61], s[12:13], v[148:149] op_sel_hi:[1,0,1]
	v_pk_fma_f32 v[60:61], v[60:61], s[12:13], v[64:65] op_sel_hi:[1,0,1]
	v_mov_b32_e32 v65, v73
	v_pk_add_f32 v[68:69], v[68:69], v[76:77]
	v_mov_b32_e32 v73, v87
	v_mov_b32_e32 v64, v86
	v_pk_fma_f32 v[86:87], v[68:69], s[12:13], v[72:73] op_sel_hi:[1,0,1]
	v_mov_b32_e32 v71, v74
	v_mov_b32_e32 v72, v25
	;; [unrolled: 1-line block ×3, first 2 shown]
	v_pk_fma_f32 v[64:65], v[68:69], s[12:13], v[64:65] op_sel_hi:[1,0,1]
	v_mov_b32_e32 v81, v82
	v_mov_b32_e32 v68, v24
	;; [unrolled: 1-line block ×3, first 2 shown]
	v_pk_mul_f32 v[72:73], v[70:71], v[72:73]
	v_mov_b32_e32 v66, v63
	v_pk_fma_f32 v[68:69], v[80:81], v[68:69], v[72:73]
	v_mov_b32_e32 v83, v80
	v_add_f32_e32 v62, v68, v63
	v_pk_add_f32 v[72:73], v[68:69], v[66:67] neg_lo:[0,1] neg_hi:[0,1]
	v_fma_f32 v147, -0.5, v62, v146
	v_mov_b32_e32 v66, v69
	v_mov_b32_e32 v62, v68
	v_pk_add_f32 v[148:149], v[66:67], v[62:63] neg_lo:[0,1] neg_hi:[0,1]
	v_mov_b32_e32 v80, v29
	v_mov_b32_e32 v71, v148
	v_pk_add_f32 v[148:149], v[70:71], v[148:149]
	v_add_f32_e32 v71, v69, v67
	v_mov_b32_e32 v81, v25
	v_mov_b32_e32 v163, v146
	v_fmac_f32_e32 v146, -0.5, v71
	v_mov_b32_e32 v75, v70
	v_mov_b32_e32 v70, v28
	;; [unrolled: 1-line block ×3, first 2 shown]
	v_pk_mul_f32 v[80:81], v[82:83], v[80:81]
	v_mov_b32_e32 v153, v69
	v_pk_fma_f32 v[70:71], v[74:75], v[70:71], v[80:81] neg_lo:[0,0,1] neg_hi:[0,0,1]
	v_mov_b32_e32 v75, v160
	v_mov_b32_e32 v74, v70
	;; [unrolled: 1-line block ×5, first 2 shown]
	v_pk_add_f32 v[82:83], v[74:75], v[80:81] neg_lo:[0,1] neg_hi:[0,1]
	v_pk_add_f32 v[74:75], v[80:81], v[74:75] neg_lo:[0,1] neg_hi:[0,1]
	v_add_f32_e32 v80, v71, v156
	v_pk_add_f32 v[152:153], v[162:163], v[152:153]
	v_mov_b32_e32 v154, v71
	v_mov_b32_e32 v155, v68
	;; [unrolled: 1-line block ×3, first 2 shown]
	v_fma_f32 v148, -0.5, v80, v162
	v_mov_b32_e32 v80, v83
	v_pk_add_f32 v[68:69], v[152:153], v[154:155]
	v_mov_b32_e32 v161, v67
	s_mov_b32 s1, s6
	v_pk_add_f32 v[80:81], v[82:83], v[80:81]
	v_pk_add_f32 v[68:69], v[68:69], v[156:157]
	v_pk_mul_f32 v[76:77], v[72:73], s[0:1]
	s_mov_b32 s7, s0
	v_add_f32_e32 v81, v70, v160
	v_mov_b32_e32 v83, v162
	v_pk_add_f32 v[152:153], v[68:69], v[160:161]
	v_mov_b32_e32 v161, v156
	v_pk_mul_f32 v[72:73], v[72:73], s[6:7]
	v_fmac_f32_e32 v83, -0.5, v81
	v_add_f32_e32 v81, v148, v77
	v_sub_f32_e32 v77, v148, v77
	v_pk_add_f32 v[68:69], v[70:71], v[160:161] neg_lo:[0,1] neg_hi:[0,1]
	v_add_f32_e32 v82, v76, v81
	v_sub_f32_e32 v77, v77, v76
	v_sub_f32_e32 v76, v83, v72
	v_add_f32_e32 v72, v72, v83
	v_pk_mul_f32 v[70:71], v[68:69], s[6:7]
	v_add_f32_e32 v151, v73, v76
	v_mov_b32_e32 v81, v74
	v_sub_f32_e32 v73, v72, v73
	v_sub_f32_e32 v72, v147, v70
	v_pk_add_f32 v[62:63], v[62:63], v[66:67] neg_lo:[0,1] neg_hi:[0,1]
	v_pk_add_f32 v[74:75], v[80:81], v[74:75]
	v_sub_f32_e32 v83, v72, v71
	v_mov_b32_e32 v81, v149
	v_pk_mul_f32 v[68:69], v[68:69], s[0:1]
	v_mov_b32_e32 v66, v63
	v_pk_mul_f32 v[148:149], v[80:81], s[12:13] op_sel_hi:[1,0]
	v_pk_fma_f32 v[80:81], v[80:81], s[12:13], v[82:83] op_sel_hi:[1,0,1]
	v_add_f32_e32 v72, v69, v146
	v_pk_add_f32 v[62:63], v[62:63], v[66:67]
	v_sub_f32_e32 v69, v146, v69
	v_sub_f32_e32 v150, v72, v68
	v_mov_b32_e32 v63, v75
	v_add_f32_e32 v72, v68, v69
	v_pk_mul_f32 v[68:69], v[80:81], s[0:1] op_sel_hi:[1,0]
	v_pk_fma_f32 v[66:67], v[62:63], s[12:13], v[150:151] op_sel_hi:[1,0,1]
	v_pk_fma_f32 v[82:83], v[80:81], s[18:19], v[68:69] op_sel:[0,0,1] op_sel_hi:[1,0,0]
	v_pk_fma_f32 v[68:69], v[80:81], s[18:19], v[68:69] op_sel:[0,0,1] op_sel_hi:[1,0,0] neg_lo:[0,0,1] neg_hi:[0,0,1]
	v_add_f32_e32 v70, v147, v70
	v_mov_b32_e32 v83, v69
	v_pk_mul_f32 v[68:69], v[66:67], s[6:7] op_sel_hi:[1,0]
	v_add_f32_e32 v76, v71, v70
	v_pk_fma_f32 v[62:63], v[62:63], s[12:13], v[72:73] op_sel_hi:[1,0,1]
	v_pk_fma_f32 v[72:73], v[66:67], s[12:13], v[68:69] op_sel:[0,0,1] op_sel_hi:[1,0,0]
	v_pk_fma_f32 v[66:67], v[66:67], s[12:13], v[68:69] op_sel:[0,0,1] op_sel_hi:[1,0,0] neg_lo:[0,0,1] neg_hi:[0,0,1]
	v_pk_add_f32 v[70:71], v[148:149], v[76:77] op_sel:[1,0] op_sel_hi:[0,1]
	v_mov_b32_e32 v147, v66
	s_mov_b32 s7, 0xbf737871
	v_pk_mul_f32 v[66:67], v[62:63], s[12:13] op_sel_hi:[1,0]
	s_mov_b32 s1, 0xbf167918
	v_pk_fma_f32 v[62:63], v[62:63], s[6:7], v[66:67] op_sel:[0,0,1] op_sel_hi:[1,1,0] neg_lo:[0,0,1] neg_hi:[0,0,1]
	v_pk_mul_f32 v[66:67], v[70:71], s[18:19] op_sel_hi:[1,0]
	v_pk_add_f32 v[74:75], v[86:87], v[62:63]
	v_pk_fma_f32 v[66:67], v[70:71], s[0:1], v[66:67] op_sel:[0,0,1] op_sel_hi:[1,1,0] neg_lo:[0,0,1] neg_hi:[0,0,1]
	v_pk_add_f32 v[70:71], v[84:85], v[82:83]
	v_pk_add_f32 v[76:77], v[60:61], v[66:67]
	v_pk_add_f32 v[80:81], v[84:85], v[82:83] neg_lo:[0,1] neg_hi:[0,1]
	v_pk_add_f32 v[84:85], v[86:87], v[62:63] neg_lo:[0,1] neg_hi:[0,1]
	;; [unrolled: 1-line block ×3, first 2 shown]
	s_waitcnt vmcnt(0)
	v_pk_mul_f32 v[60:61], v[90:91], v[56:57] op_sel:[0,1]
	v_mov_b32_e32 v146, v73
	v_pk_fma_f32 v[62:63], v[90:91], v[56:57], v[60:61] op_sel:[0,0,1] op_sel_hi:[1,1,0] neg_lo:[0,0,1] neg_hi:[0,0,1]
	v_pk_fma_f32 v[60:61], v[90:91], v[56:57], v[60:61] op_sel:[0,0,1] op_sel_hi:[1,0,0]
	v_pk_add_f32 v[72:73], v[64:65], v[146:147]
	v_mov_b32_e32 v60, v59
	v_mov_b32_e32 v63, v61
	v_pk_mul_f32 v[60:61], v[104:105], v[60:61] op_sel_hi:[1,0]
	v_pk_add_f32 v[82:83], v[64:65], v[146:147] neg_lo:[0,1] neg_hi:[0,1]
	v_pk_fma_f32 v[64:65], v[104:105], v[58:59], v[60:61] op_sel:[0,0,1] op_sel_hi:[1,1,0] neg_lo:[0,0,1] neg_hi:[0,0,1]
	v_pk_fma_f32 v[60:61], v[104:105], v[58:59], v[60:61] op_sel:[0,0,1] op_sel_hi:[1,0,0]
	v_pk_add_f32 v[78:79], v[78:79], v[172:173]
	v_mov_b32_e32 v65, v61
	v_pk_mul_f32 v[60:61], v[106:107], v[52:53] op_sel:[0,1]
	v_pk_add_f32 v[78:79], v[78:79], v[158:159]
	v_pk_fma_f32 v[66:67], v[106:107], v[52:53], v[60:61] op_sel:[0,0,1] op_sel_hi:[1,1,0] neg_lo:[0,0,1] neg_hi:[0,0,1]
	v_pk_fma_f32 v[60:61], v[106:107], v[52:53], v[60:61] op_sel:[0,0,1] op_sel_hi:[1,0,0]
	v_pk_add_f32 v[68:69], v[78:79], v[152:153]
	v_mov_b32_e32 v60, v55
	v_mov_b32_e32 v67, v61
	v_pk_mul_f32 v[60:61], v[100:101], v[60:61] op_sel_hi:[1,0]
	v_pk_add_f32 v[78:79], v[78:79], v[152:153] neg_lo:[0,1] neg_hi:[0,1]
	v_pk_fma_f32 v[90:91], v[100:101], v[54:55], v[60:61] op_sel:[0,0,1] op_sel_hi:[1,1,0] neg_lo:[0,0,1] neg_hi:[0,0,1]
	v_pk_fma_f32 v[60:61], v[100:101], v[54:55], v[60:61] op_sel:[0,0,1] op_sel_hi:[1,0,0]
	s_mov_b32 s20, s7
	v_mov_b32_e32 v91, v61
	v_pk_mul_f32 v[60:61], v[102:103], v[48:49] op_sel:[0,1]
	v_pk_add_f32 v[154:155], v[64:65], v[90:91] neg_lo:[0,1] neg_hi:[0,1]
	v_pk_fma_f32 v[100:101], v[102:103], v[48:49], v[60:61] op_sel:[0,0,1] op_sel_hi:[1,1,0] neg_lo:[0,0,1] neg_hi:[0,0,1]
	v_pk_fma_f32 v[60:61], v[102:103], v[48:49], v[60:61] op_sel:[0,0,1] op_sel_hi:[1,0,0]
	s_nop 0
	v_mov_b32_e32 v60, v51
	v_mov_b32_e32 v101, v61
	v_pk_mul_f32 v[60:61], v[96:97], v[60:61] op_sel_hi:[1,0]
	v_pk_add_f32 v[172:173], v[66:67], v[100:101] neg_lo:[0,1] neg_hi:[0,1]
	v_pk_fma_f32 v[102:103], v[96:97], v[50:51], v[60:61] op_sel:[0,0,1] op_sel_hi:[1,1,0] neg_lo:[0,0,1] neg_hi:[0,0,1]
	v_pk_fma_f32 v[60:61], v[96:97], v[50:51], v[60:61] op_sel:[0,0,1] op_sel_hi:[1,0,0]
	s_nop 0
	v_mov_b32_e32 v103, v61
	v_pk_mul_f32 v[60:61], v[98:99], v[44:45] op_sel:[0,1]
	v_pk_add_f32 v[106:107], v[90:91], v[102:103]
	v_pk_fma_f32 v[96:97], v[98:99], v[44:45], v[60:61] op_sel:[0,0,1] op_sel_hi:[1,1,0] neg_lo:[0,0,1] neg_hi:[0,0,1]
	v_pk_fma_f32 v[60:61], v[98:99], v[44:45], v[60:61] op_sel:[0,0,1] op_sel_hi:[1,0,0]
	v_pk_fma_f32 v[106:107], v[106:107], 0.5, v[88:89] op_sel_hi:[1,0,1] neg_lo:[1,0,0] neg_hi:[1,0,0]
	v_mov_b32_e32 v60, v47
	v_mov_b32_e32 v97, v61
	v_pk_mul_f32 v[60:61], v[92:93], v[60:61] op_sel_hi:[1,0]
	v_pk_add_f32 v[150:151], v[90:91], v[102:103] neg_lo:[0,1] neg_hi:[0,1]
	v_pk_fma_f32 v[98:99], v[92:93], v[46:47], v[60:61] op_sel:[0,0,1] op_sel_hi:[1,1,0] neg_lo:[0,0,1] neg_hi:[0,0,1]
	v_pk_fma_f32 v[60:61], v[92:93], v[46:47], v[60:61] op_sel:[0,0,1] op_sel_hi:[1,0,0]
	v_pk_mul_f32 v[152:153], v[150:151], s[0:1] op_sel_hi:[1,0]
	v_mov_b32_e32 v99, v61
	v_pk_mul_f32 v[60:61], v[94:95], v[142:143] op_sel:[0,1]
	v_pk_add_f32 v[146:147], v[64:65], v[98:99] neg_lo:[0,1] neg_hi:[0,1]
	v_pk_fma_f32 v[92:93], v[94:95], v[142:143], v[60:61] op_sel:[0,0,1] op_sel_hi:[1,1,0] neg_lo:[0,0,1] neg_hi:[0,0,1]
	v_pk_fma_f32 v[60:61], v[94:95], v[142:143], v[60:61] op_sel:[0,0,1] op_sel_hi:[1,0,0]
	v_pk_mul_f32 v[148:149], v[146:147], s[6:7] op_sel_hi:[1,0]
	v_pk_add_f32 v[156:157], v[98:99], v[102:103] neg_lo:[0,1] neg_hi:[0,1]
	v_mov_b32_e32 v93, v61
	v_pk_add_f32 v[154:155], v[154:155], v[156:157]
	v_pk_add_f32 v[156:157], v[106:107], v[148:149] op_sel:[0,1] op_sel_hi:[1,0]
	v_pk_add_f32 v[106:107], v[106:107], v[148:149] op_sel:[0,1] op_sel_hi:[1,0] neg_lo:[0,1] neg_hi:[0,1]
	v_pk_add_f32 v[148:149], v[156:157], v[152:153] op_sel:[0,1] op_sel_hi:[1,0]
	v_pk_add_f32 v[156:157], v[100:101], v[96:97]
	v_pk_add_f32 v[158:159], v[66:67], v[92:93] neg_lo:[0,1] neg_hi:[0,1]
	v_pk_fma_f32 v[156:157], v[156:157], 0.5, v[62:63] op_sel_hi:[1,0,1] neg_lo:[1,0,0] neg_hi:[1,0,0]
	v_pk_mul_f32 v[160:161], v[158:159], s[6:7] op_sel_hi:[1,0]
	v_pk_add_f32 v[162:163], v[100:101], v[96:97] neg_lo:[0,1] neg_hi:[0,1]
	v_pk_add_f32 v[174:175], v[92:93], v[96:97] neg_lo:[0,1] neg_hi:[0,1]
	v_pk_mul_f32 v[170:171], v[162:163], s[0:1] op_sel_hi:[1,0]
	v_pk_add_f32 v[172:173], v[172:173], v[174:175]
	v_pk_add_f32 v[174:175], v[156:157], v[160:161] op_sel:[0,1] op_sel_hi:[1,0]
	v_pk_add_f32 v[156:157], v[156:157], v[160:161] op_sel:[0,1] op_sel_hi:[1,0] neg_lo:[0,1] neg_hi:[0,1]
	v_pk_add_f32 v[160:161], v[174:175], v[170:171] op_sel:[0,1] op_sel_hi:[1,0]
	v_pk_add_f32 v[156:157], v[156:157], v[170:171] op_sel:[0,1] op_sel_hi:[1,0] neg_lo:[0,1] neg_hi:[0,1]
	v_mov_b32_e32 v170, v160
	v_mov_b32_e32 v171, v157
	v_pk_add_f32 v[60:61], v[88:89], v[64:65]
	v_pk_add_f32 v[94:95], v[62:63], v[66:67]
	v_pk_fma_f32 v[170:171], v[172:173], s[12:13], v[170:171] op_sel_hi:[1,0,1]
	v_pk_add_f32 v[60:61], v[60:61], v[90:91]
	v_pk_add_f32 v[94:95], v[94:95], v[100:101]
	v_pk_add_f32 v[106:107], v[106:107], v[152:153] op_sel:[0,1] op_sel_hi:[1,0] neg_lo:[0,1] neg_hi:[0,1]
	v_pk_mul_f32 v[174:175], v[170:171], s[0:1] op_sel_hi:[1,0]
	v_pk_add_f32 v[60:61], v[60:61], v[102:103]
	v_pk_add_f32 v[94:95], v[94:95], v[96:97]
	v_mov_b32_e32 v152, v148
	v_mov_b32_e32 v153, v107
	v_pk_fma_f32 v[176:177], v[170:171], s[18:19], v[174:175] op_sel:[0,0,1] op_sel_hi:[1,0,0]
	v_pk_fma_f32 v[170:171], v[170:171], s[18:19], v[174:175] op_sel:[0,0,1] op_sel_hi:[1,0,0] neg_lo:[0,0,1] neg_hi:[0,0,1]
	v_pk_add_f32 v[60:61], v[60:61], v[98:99]
	v_pk_add_f32 v[94:95], v[94:95], v[92:93]
	v_pk_fma_f32 v[152:153], v[154:155], s[12:13], v[152:153] op_sel_hi:[1,0,1]
	v_mov_b32_e32 v177, v171
	v_pk_add_f32 v[104:105], v[60:61], v[94:95]
	v_pk_add_f32 v[170:171], v[152:153], v[176:177]
	ds_write2_b64 v117, v[104:105], v[170:171] offset1:160
	v_pk_add_f32 v[104:105], v[64:65], v[98:99]
	v_pk_add_f32 v[64:65], v[90:91], v[64:65] neg_lo:[0,1] neg_hi:[0,1]
	v_pk_add_f32 v[90:91], v[102:103], v[98:99] neg_lo:[0,1] neg_hi:[0,1]
	v_pk_fma_f32 v[88:89], v[104:105], 0.5, v[88:89] op_sel_hi:[1,0,1] neg_lo:[1,0,0] neg_hi:[1,0,0]
	v_pk_add_f32 v[64:65], v[64:65], v[90:91]
	v_pk_add_f32 v[90:91], v[66:67], v[92:93]
	v_pk_add_f32 v[66:67], v[100:101], v[66:67] neg_lo:[0,1] neg_hi:[0,1]
	v_pk_fma_f32 v[62:63], v[90:91], 0.5, v[62:63] op_sel_hi:[1,0,1] neg_lo:[1,0,0] neg_hi:[1,0,0]
	v_pk_add_f32 v[90:91], v[96:97], v[92:93] neg_lo:[0,1] neg_hi:[0,1]
	v_pk_mul_f32 v[92:93], v[146:147], s[0:1] op_sel_hi:[1,0]
	v_pk_add_f32 v[66:67], v[66:67], v[90:91]
	v_pk_mul_f32 v[90:91], v[150:151], s[6:7] op_sel_hi:[1,0]
	v_pk_mul_f32 v[98:99], v[158:159], s[0:1] op_sel_hi:[1,0]
	v_pk_add_f32 v[96:97], v[88:89], v[90:91] op_sel:[0,1] op_sel_hi:[1,0] neg_lo:[0,1] neg_hi:[0,1]
	v_pk_add_f32 v[88:89], v[88:89], v[90:91] op_sel:[0,1] op_sel_hi:[1,0]
	v_pk_add_f32 v[90:91], v[96:97], v[92:93] op_sel:[0,1] op_sel_hi:[1,0]
	v_pk_mul_f32 v[96:97], v[162:163], s[6:7] op_sel_hi:[1,0]
	v_pk_add_f32 v[88:89], v[88:89], v[92:93] op_sel:[0,1] op_sel_hi:[1,0] neg_lo:[0,1] neg_hi:[0,1]
	v_pk_add_f32 v[100:101], v[62:63], v[96:97] op_sel:[0,1] op_sel_hi:[1,0] neg_lo:[0,1] neg_hi:[0,1]
	v_pk_add_f32 v[62:63], v[62:63], v[96:97] op_sel:[0,1] op_sel_hi:[1,0]
	v_pk_add_f32 v[96:97], v[100:101], v[98:99] op_sel:[0,1] op_sel_hi:[1,0]
	v_pk_add_f32 v[62:63], v[62:63], v[98:99] op_sel:[0,1] op_sel_hi:[1,0] neg_lo:[0,1] neg_hi:[0,1]
	v_mov_b32_e32 v98, v96
	v_mov_b32_e32 v99, v63
	v_pk_fma_f32 v[98:99], v[66:67], s[12:13], v[98:99] op_sel_hi:[1,0,1]
	v_mov_b32_e32 v63, v97
	v_pk_mul_f32 v[100:101], v[98:99], s[6:7] op_sel_hi:[1,0]
	v_pk_fma_f32 v[62:63], v[66:67], s[12:13], v[62:63] op_sel_hi:[1,0,1]
	v_mov_b32_e32 v92, v90
	v_mov_b32_e32 v93, v89
	v_pk_fma_f32 v[102:103], v[98:99], s[12:13], v[100:101] op_sel:[0,0,1] op_sel_hi:[1,0,0]
	v_pk_fma_f32 v[98:99], v[98:99], s[12:13], v[100:101] op_sel:[0,0,1] op_sel_hi:[1,0,0] neg_lo:[0,0,1] neg_hi:[0,0,1]
	v_mov_b32_e32 v89, v91
	v_pk_mul_f32 v[66:67], v[62:63], s[12:13] op_sel_hi:[1,0]
	v_pk_fma_f32 v[92:93], v[64:65], s[12:13], v[92:93] op_sel_hi:[1,0,1]
	v_mov_b32_e32 v103, v99
	v_pk_fma_f32 v[64:65], v[64:65], s[12:13], v[88:89] op_sel_hi:[1,0,1]
	v_pk_fma_f32 v[62:63], v[62:63], s[20:21], v[66:67] op_sel:[0,0,1] op_sel_hi:[1,1,0] neg_lo:[0,0,1] neg_hi:[0,0,1]
	v_pk_add_f32 v[98:99], v[92:93], v[102:103]
	v_pk_add_f32 v[66:67], v[64:65], v[62:63] op_sel:[0,1] op_sel_hi:[1,0]
	v_add_u32_e32 v89, 0x800, v117
	v_mov_b32_e32 v157, v161
	ds_write2_b64 v89, v[98:99], v[66:67] offset0:64 offset1:224
	v_pk_fma_f32 v[66:67], v[172:173], s[12:13], v[156:157] op_sel_hi:[1,0,1]
	v_mov_b32_e32 v107, v149
	s_mov_b32 s6, s1
	s_mov_b32 s7, s0
	v_pk_mul_f32 v[96:97], v[66:67], s[18:19] op_sel_hi:[1,0]
	v_pk_fma_f32 v[90:91], v[154:155], s[12:13], v[106:107] op_sel_hi:[1,0,1]
	v_pk_fma_f32 v[96:97], v[66:67], s[6:7], v[96:97] op_sel:[0,0,1] op_sel_hi:[1,1,0] neg_lo:[0,0,1] neg_hi:[0,0,1]
	v_pk_add_f32 v[60:61], v[60:61], v[94:95] neg_lo:[0,1] neg_hi:[0,1]
	v_pk_add_f32 v[98:99], v[90:91], v[96:97] op_sel:[0,1] op_sel_hi:[1,0]
	v_add_u32_e32 v66, 0x1400, v117
	ds_write2_b64 v66, v[98:99], v[60:61] offset1:160
	v_pk_add_f32 v[60:61], v[152:153], v[176:177] neg_lo:[0,1] neg_hi:[0,1]
	v_pk_add_f32 v[92:93], v[92:93], v[102:103] neg_lo:[0,1] neg_hi:[0,1]
	v_add_u32_e32 v67, 0x1c00, v117
	ds_write2_b64 v67, v[60:61], v[92:93] offset0:64 offset1:224
	v_pk_add_f32 v[60:61], v[64:65], v[62:63] op_sel:[0,1] op_sel_hi:[1,0] neg_lo:[0,1] neg_hi:[0,1]
	v_pk_add_f32 v[62:63], v[90:91], v[96:97] op_sel:[0,1] op_sel_hi:[1,0] neg_lo:[0,1] neg_hi:[0,1]
	v_add_u32_e32 v88, 0x2800, v117
	ds_write2_b64 v88, v[60:61], v[62:63] offset1:160
	s_and_saveexec_b64 s[0:1], s[4:5]
	s_cbranch_execz .LBB0_11
; %bb.10:
	v_add_u32_e32 v60, 0x200, v117
	ds_write2_b64 v60, v[68:69], v[70:71] offset0:36 offset1:196
	v_add_u32_e32 v60, 0xc00, v117
	ds_write2_b64 v60, v[72:73], v[74:75] offset0:36 offset1:196
	v_add_u32_e32 v60, 0x1600, v117
	ds_write2_b64 v60, v[76:77], v[78:79] offset0:36 offset1:196
	v_add_u32_e32 v60, 0x2000, v117
	ds_write2_b64 v60, v[80:81], v[82:83] offset0:36 offset1:196
	v_add_u32_e32 v60, 0x2a00, v117
	ds_write2_b64 v60, v[84:85], v[86:87] offset0:36 offset1:196
.LBB0_11:
	s_or_b64 exec, exec, s[0:1]
	s_add_u32 s0, s16, 0x3200
	s_addc_u32 s1, s17, 0
	v_lshlrev_b32_e32 v60, 3, v110
	v_mov_b32_e32 v61, 0
	s_waitcnt lgkmcnt(0)
	s_barrier
	global_load_dwordx2 v[106:107], v60, s[0:1]
	global_load_dwordx2 v[148:149], v60, s[0:1] offset:1280
	global_load_dwordx2 v[150:151], v60, s[0:1] offset:2560
	;; [unrolled: 1-line block ×3, first 2 shown]
	global_load_dwordx2 v[154:155], v144, s[0:1]
	s_movk_i32 s6, 0x1000
	v_lshl_add_u64 v[60:61], s[0:1], 0, v[60:61]
	v_add_co_u32_e32 v64, vcc, s6, v60
	s_movk_i32 s7, 0x2000
	s_nop 0
	v_addc_co_u32_e32 v65, vcc, 0, v61, vcc
	v_add_co_u32_e32 v62, vcc, s7, v60
	global_load_dwordx2 v[156:157], v[64:65], off offset:2304
	global_load_dwordx2 v[158:159], v[64:65], off offset:3584
	v_addc_co_u32_e32 v63, vcc, 0, v61, vcc
	global_load_dwordx2 v[160:161], v[62:63], off offset:768
	global_load_dwordx2 v[162:163], v145, s[0:1]
	global_load_dwordx2 v[170:171], v[62:63], off offset:3328
	ds_read2_b64 v[90:93], v117 offset1:160
	ds_read2_b64 v[94:97], v89 offset0:64 offset1:224
	ds_read2_b64 v[98:101], v66 offset1:160
	ds_read2_b64 v[102:105], v67 offset0:64 offset1:224
	ds_read2_b64 v[144:147], v88 offset1:160
	s_waitcnt vmcnt(9) lgkmcnt(4)
	v_mul_f32_e32 v169, v91, v107
	v_mul_f32_e32 v173, v90, v107
	s_waitcnt vmcnt(8)
	v_mul_f32_e32 v174, v93, v149
	v_mul_f32_e32 v107, v92, v149
	s_waitcnt vmcnt(7) lgkmcnt(3)
	v_mul_f32_e32 v175, v95, v151
	v_mul_f32_e32 v149, v94, v151
	s_waitcnt vmcnt(6)
	v_mul_f32_e32 v176, v97, v153
	v_mul_f32_e32 v151, v96, v153
	v_fma_f32 v172, v90, v106, -v169
	v_fmac_f32_e32 v173, v91, v106
	v_fma_f32 v106, v92, v148, -v174
	v_fmac_f32_e32 v107, v93, v148
	s_waitcnt vmcnt(5) lgkmcnt(2)
	v_mul_f32_e32 v177, v99, v155
	v_mul_f32_e32 v153, v98, v155
	v_fma_f32 v148, v94, v150, -v175
	v_fmac_f32_e32 v149, v95, v150
	v_fma_f32 v150, v96, v152, -v176
	v_fmac_f32_e32 v151, v97, v152
	ds_write2_b64 v117, v[172:173], v[106:107] offset1:160
	ds_write2_b64 v89, v[148:149], v[150:151] offset0:64 offset1:224
	s_waitcnt vmcnt(4)
	v_mul_f32_e32 v89, v101, v157
	v_mul_f32_e32 v91, v100, v157
	v_fma_f32 v152, v98, v154, -v177
	v_fmac_f32_e32 v153, v99, v154
	s_waitcnt vmcnt(3) lgkmcnt(3)
	v_mul_f32_e32 v92, v103, v159
	v_mul_f32_e32 v93, v102, v159
	s_waitcnt vmcnt(2)
	v_mul_f32_e32 v94, v105, v161
	v_mul_f32_e32 v95, v104, v161
	s_waitcnt vmcnt(1) lgkmcnt(2)
	v_mul_f32_e32 v96, v145, v163
	v_mul_f32_e32 v97, v144, v163
	s_waitcnt vmcnt(0)
	v_mul_f32_e32 v98, v147, v171
	v_mul_f32_e32 v99, v146, v171
	v_fma_f32 v90, v100, v156, -v89
	v_fmac_f32_e32 v91, v101, v156
	v_fma_f32 v92, v102, v158, -v92
	v_fmac_f32_e32 v93, v103, v158
	;; [unrolled: 2-line block ×5, first 2 shown]
	ds_write2_b64 v66, v[152:153], v[90:91] offset1:160
	ds_write2_b64 v67, v[92:93], v[94:95] offset0:64 offset1:224
	ds_write2_b64 v88, v[96:97], v[98:99] offset1:160
	s_and_saveexec_b64 s[0:1], s[4:5]
	s_cbranch_execz .LBB0_13
; %bb.12:
	global_load_dwordx2 v[100:101], v[60:61], off offset:800
	global_load_dwordx2 v[102:103], v[60:61], off offset:2080
	;; [unrolled: 1-line block ×9, first 2 shown]
	v_add_co_u32_e32 v60, vcc, 0x3000, v60
	v_add_u32_e32 v158, 0x200, v117
	s_nop 0
	v_addc_co_u32_e32 v61, vcc, 0, v61, vcc
	global_load_dwordx2 v[154:155], v[60:61], off offset:32
	v_add_u32_e32 v159, 0xc00, v117
	v_add_u32_e32 v160, 0x1600, v117
	;; [unrolled: 1-line block ×4, first 2 shown]
	ds_read2_b64 v[60:63], v158 offset0:36 offset1:196
	ds_read2_b64 v[64:67], v159 offset0:36 offset1:196
	;; [unrolled: 1-line block ×5, first 2 shown]
	s_waitcnt vmcnt(9) lgkmcnt(4)
	v_mul_f32_e32 v156, v61, v101
	v_mul_f32_e32 v157, v60, v101
	s_waitcnt vmcnt(8)
	v_mul_f32_e32 v163, v63, v103
	v_mul_f32_e32 v101, v62, v103
	s_waitcnt vmcnt(7) lgkmcnt(3)
	v_mul_f32_e32 v169, v65, v105
	v_mul_f32_e32 v103, v64, v105
	s_waitcnt vmcnt(6)
	v_mul_f32_e32 v170, v67, v107
	v_mul_f32_e32 v105, v66, v107
	;; [unrolled: 6-line block ×4, first 2 shown]
	s_waitcnt vmcnt(1) lgkmcnt(0)
	v_mul_f32_e32 v175, v97, v153
	v_mul_f32_e32 v151, v96, v153
	v_fma_f32 v156, v60, v100, -v156
	v_fmac_f32_e32 v157, v61, v100
	s_waitcnt vmcnt(0)
	v_mul_f32_e32 v60, v99, v155
	v_mul_f32_e32 v61, v98, v155
	v_fma_f32 v100, v62, v102, -v163
	v_fmac_f32_e32 v101, v63, v102
	v_fma_f32 v102, v64, v104, -v169
	v_fmac_f32_e32 v103, v65, v104
	v_fma_f32 v104, v66, v106, -v170
	v_fmac_f32_e32 v105, v67, v106
	v_fma_f32 v106, v88, v144, -v171
	v_fmac_f32_e32 v107, v89, v144
	v_fma_f32 v144, v90, v146, -v172
	v_fmac_f32_e32 v145, v91, v146
	v_fma_f32 v146, v92, v148, -v173
	v_fmac_f32_e32 v147, v93, v148
	v_fma_f32 v148, v94, v150, -v174
	v_fmac_f32_e32 v149, v95, v150
	v_fma_f32 v150, v96, v152, -v175
	v_fmac_f32_e32 v151, v97, v152
	v_fma_f32 v60, v98, v154, -v60
	v_fmac_f32_e32 v61, v99, v154
	ds_write2_b64 v158, v[156:157], v[100:101] offset0:36 offset1:196
	ds_write2_b64 v159, v[102:103], v[104:105] offset0:36 offset1:196
	;; [unrolled: 1-line block ×5, first 2 shown]
.LBB0_13:
	s_or_b64 exec, exec, s[0:1]
	v_add_u32_e32 v60, 0x800, v117
	s_waitcnt lgkmcnt(0)
	s_barrier
	ds_read2_b64 v[92:95], v60 offset0:64 offset1:224
	v_add_u32_e32 v60, 0x1400, v117
	ds_read2_b64 v[96:99], v60 offset1:160
	v_add_u32_e32 v60, 0x1c00, v117
	ds_read2_b64 v[100:103], v60 offset0:64 offset1:224
	v_add_u32_e32 v60, 0x2800, v117
	ds_read2_b64 v[88:91], v117 offset1:160
	ds_read2_b64 v[104:107], v60 offset1:160
	s_and_saveexec_b64 s[0:1], s[4:5]
	s_cbranch_execz .LBB0_15
; %bb.14:
	v_add_u32_e32 v60, 0x200, v117
	ds_read2_b64 v[68:71], v60 offset0:36 offset1:196
	v_add_u32_e32 v60, 0xc00, v117
	ds_read2_b64 v[72:75], v60 offset0:36 offset1:196
	;; [unrolled: 2-line block ×5, first 2 shown]
.LBB0_15:
	s_or_b64 exec, exec, s[0:1]
	s_waitcnt lgkmcnt(0)
	v_mov_b32_e32 v156, v86
	v_mov_b32_e32 v157, v74
	;; [unrolled: 1-line block ×4, first 2 shown]
	v_pk_add_f32 v[150:151], v[78:79], v[82:83]
	v_pk_add_f32 v[160:161], v[156:157], v[158:159] neg_lo:[0,1] neg_hi:[0,1]
	v_fma_f32 v163, -0.5, v150, v70
	v_mov_b32_e32 v150, v161
	v_pk_add_f32 v[154:155], v[78:79], v[82:83] neg_lo:[0,1] neg_hi:[0,1]
	v_pk_add_f32 v[160:161], v[160:161], v[150:151]
	s_mov_b32 s0, 0x3e9e377a
	v_pk_add_f32 v[152:153], v[74:75], v[86:87] neg_lo:[0,1] neg_hi:[0,1]
	v_mov_b32_e32 v161, v155
	s_mov_b32 s1, 0x3f167918
	v_fmamk_f32 v162, v153, 0xbf737871, v163
	v_pk_mul_f32 v[160:161], v[160:161], s[0:1]
	v_fmac_f32_e32 v163, 0x3f737871, v153
	v_sub_f32_e32 v150, v162, v161
	v_add_f32_e32 v162, v160, v150
	v_add_f32_e32 v150, v161, v163
	v_pk_add_f32 v[156:157], v[158:159], v[156:157] neg_lo:[0,1] neg_hi:[0,1]
	v_add_f32_e32 v178, v160, v150
	v_mov_b32_e32 v150, v157
	v_pk_add_f32 v[160:161], v[86:87], v[74:75]
	v_pk_add_f32 v[156:157], v[156:157], v[150:151]
	v_fma_f32 v160, -0.5, v160, v70
	v_mov_b32_e32 v157, v153
	v_fmamk_f32 v163, v155, 0x3f737871, v160
	v_pk_mul_f32 v[156:157], v[156:157], s[0:1]
	v_fmac_f32_e32 v160, 0xbf737871, v155
	v_sub_f32_e32 v150, v163, v157
	v_add_f32_e32 v158, v156, v150
	v_add_f32_e32 v150, v157, v160
	;; [unrolled: 1-line block ×3, first 2 shown]
	v_fma_f32 v153, -0.5, v151, v71
	v_mov_b32_e32 v150, v87
	v_mov_b32_e32 v151, v75
	;; [unrolled: 1-line block ×4, first 2 shown]
	v_pk_add_f32 v[180:181], v[150:151], v[156:157] neg_lo:[0,1] neg_hi:[0,1]
	v_mov_b32_e32 v62, v98
	v_mov_b32_e32 v182, v181
	;; [unrolled: 1-line block ×5, first 2 shown]
	v_pk_add_f32 v[180:181], v[180:181], v[182:183]
	v_pk_add_f32 v[60:61], v[94:95], v[106:107]
	v_pk_add_f32 v[62:63], v[62:63], v[64:65] neg_lo:[0,1] neg_hi:[0,1]
	v_mov_b32_e32 v181, v154
	v_pk_add_f32 v[150:151], v[156:157], v[150:151] neg_lo:[0,1] neg_hi:[0,1]
	v_fma_f32 v169, -0.5, v60, v90
	v_mov_b32_e32 v60, v63
	v_fmamk_f32 v155, v152, 0x3f737871, v153
	v_pk_mul_f32 v[180:181], v[180:181], s[0:1]
	v_fmac_f32_e32 v153, 0xbf737871, v152
	v_mov_b32_e32 v156, v151
	v_pk_add_f32 v[174:175], v[62:63], v[60:61]
	v_fma_f32 v202, -0.5, v61, v91
	v_mov_b32_e32 v60, v99
	v_mov_b32_e32 v61, v103
	;; [unrolled: 1-line block ×4, first 2 shown]
	v_add_f32_e32 v155, v181, v155
	v_sub_f32_e32 v153, v153, v181
	v_pk_add_f32 v[150:151], v[150:151], v[156:157]
	v_pk_add_f32 v[60:61], v[60:61], v[62:63] neg_lo:[0,1] neg_hi:[0,1]
	v_add_f32_e32 v182, v180, v155
	v_add_f32_e32 v180, v180, v153
	v_fma_f32 v153, -0.5, v161, v71
	v_mov_b32_e32 v151, v152
	v_mov_b32_e32 v62, v61
	v_fmamk_f32 v155, v154, 0xbf737871, v153
	v_pk_mul_f32 v[150:151], v[150:151], s[0:1]
	v_fmac_f32_e32 v153, 0x3f737871, v154
	v_pk_add_f32 v[176:177], v[60:61], v[62:63]
	v_pk_add_f32 v[60:61], v[80:81], v[76:77]
	v_pk_add_f32 v[62:63], v[72:73], v[84:85] neg_lo:[0,1] neg_hi:[0,1]
	s_mov_b32 s6, 0x3f737871
	v_add_f32_e32 v152, v151, v155
	v_sub_f32_e32 v151, v153, v151
	v_pk_add_f32 v[64:65], v[76:77], v[80:81] neg_lo:[0,1] neg_hi:[0,1]
	v_pk_add_f32 v[66:67], v[72:73], v[76:77] neg_lo:[0,1] neg_hi:[0,1]
	;; [unrolled: 1-line block ×3, first 2 shown]
	v_add_f32_e32 v156, v150, v152
	v_add_f32_e32 v184, v150, v151
	v_pk_fma_f32 v[60:61], v[60:61], 0.5, v[68:69] op_sel_hi:[1,0,1] neg_lo:[1,0,0] neg_hi:[1,0,0]
	v_pk_mul_f32 v[150:151], v[62:63], s[6:7] op_sel_hi:[1,0]
	s_mov_b32 s16, s1
	s_mov_b32 s22, 0x3f4f1bbd
	v_pk_mul_f32 v[152:153], v[64:65], s[16:17] op_sel_hi:[1,0]
	v_pk_add_f32 v[66:67], v[148:149], v[66:67]
	v_pk_add_f32 v[148:149], v[60:61], v[150:151] op_sel:[0,1] op_sel_hi:[1,0] neg_lo:[0,1] neg_hi:[0,1]
	v_pk_add_f32 v[60:61], v[60:61], v[150:151] op_sel:[0,1] op_sel_hi:[1,0]
	s_mov_b32 s12, s1
	s_mov_b32 s13, s22
	v_pk_add_f32 v[60:61], v[60:61], v[152:153] op_sel:[0,1] op_sel_hi:[1,0]
	v_pk_add_f32 v[186:187], v[148:149], v[152:153] op_sel:[0,1] op_sel_hi:[1,0] neg_lo:[0,1] neg_hi:[0,1]
	s_mov_b32 s23, s1
	v_pk_mul_f32 v[152:153], v[182:183], s[12:13] op_sel_hi:[0,1]
	v_pk_fma_f32 v[150:151], v[162:163], s[22:23], v[152:153] neg_lo:[0,0,1] neg_hi:[0,0,1]
	v_pk_fma_f32 v[152:153], v[162:163], s[22:23], v[152:153] op_sel_hi:[0,1,1]
	v_mov_b32_e32 v151, v153
	v_pk_add_f32 v[152:153], v[84:85], v[72:73]
	v_pk_mul_f32 v[64:65], v[64:65], s[6:7] op_sel_hi:[1,0]
	v_pk_fma_f32 v[152:153], v[152:153], 0.5, v[68:69] op_sel_hi:[1,0,1] neg_lo:[1,0,0] neg_hi:[1,0,0]
	v_pk_add_f32 v[154:155], v[76:77], v[72:73] neg_lo:[0,1] neg_hi:[0,1]
	v_pk_add_f32 v[162:163], v[80:81], v[84:85] neg_lo:[0,1] neg_hi:[0,1]
	v_pk_add_f32 v[170:171], v[88:89], v[92:93]
	v_pk_mul_f32 v[62:63], v[62:63], s[16:17] op_sel_hi:[1,0]
	v_pk_add_f32 v[162:163], v[162:163], v[154:155]
	v_pk_add_f32 v[154:155], v[152:153], v[64:65] op_sel:[0,1] op_sel_hi:[1,0]
	v_pk_add_f32 v[64:65], v[152:153], v[64:65] op_sel:[0,1] op_sel_hi:[1,0] neg_lo:[0,1] neg_hi:[0,1]
	s_mov_b32 s7, s0
	v_mov_b32_e32 v149, v61
	v_pk_add_f32 v[64:65], v[64:65], v[62:63] op_sel:[0,1] op_sel_hi:[1,0]
	v_pk_add_f32 v[62:63], v[154:155], v[62:63] op_sel:[0,1] op_sel_hi:[1,0] neg_lo:[0,1] neg_hi:[0,1]
	s_mov_b32 s20, s0
	s_mov_b32 s21, s6
	v_pk_mul_f32 v[156:157], v[156:157], s[6:7] op_sel_hi:[0,1]
	v_mov_b32_e32 v61, v187
	v_pk_add_f32 v[170:171], v[170:171], v[96:97]
	v_pk_add_f32 v[172:173], v[90:91], v[94:95]
	v_mov_b32_e32 v152, v62
	v_mov_b32_e32 v153, v65
	v_pk_fma_f32 v[154:155], v[158:159], s[20:21], v[156:157] neg_lo:[0,0,1] neg_hi:[0,0,1]
	v_pk_fma_f32 v[156:157], v[158:159], s[20:21], v[156:157] op_sel_hi:[0,1,1]
	v_mov_b32_e32 v65, v63
	v_pk_fma_f32 v[158:159], v[66:67], s[0:1], v[60:61] op_sel_hi:[1,0,1]
	s_mov_b32 s18, 0xbf4f1bbd
	s_mov_b32 s19, s1
	v_pk_mul_f32 v[60:61], v[180:181], s[12:13] op_sel_hi:[0,1]
	v_pk_add_f32 v[170:171], v[170:171], v[100:101]
	v_pk_fma_f32 v[152:153], v[162:163], s[0:1], v[152:153] op_sel_hi:[1,0,1]
	v_mov_b32_e32 v155, v157
	v_pk_fma_f32 v[156:157], v[162:163], s[0:1], v[64:65] op_sel_hi:[1,0,1]
	v_pk_fma_f32 v[162:163], v[178:179], s[18:19], v[60:61] op_sel_hi:[0,1,1] neg_lo:[0,0,1] neg_hi:[0,0,1]
	v_pk_add_f32 v[178:179], v[170:171], v[104:105]
	v_pk_add_f32 v[170:171], v[172:173], v[98:99]
	v_pk_add_f32 v[172:173], v[96:97], v[100:101]
	v_pk_add_f32 v[182:183], v[92:93], v[104:105] neg_lo:[0,1] neg_hi:[0,1]
	v_mov_b32_e32 v148, v186
	v_pk_mul_f32 v[62:63], v[184:185], s[6:7] op_sel_hi:[0,1]
	v_pk_fma_f32 v[172:173], v[172:173], 0.5, v[88:89] op_sel_hi:[1,0,1] neg_lo:[1,0,0] neg_hi:[1,0,0]
	v_pk_mul_f32 v[184:185], v[182:183], s[6:7] op_sel_hi:[1,0]
	v_pk_add_f32 v[186:187], v[96:97], v[100:101] neg_lo:[0,1] neg_hi:[0,1]
	v_pk_add_f32 v[190:191], v[92:93], v[96:97] neg_lo:[0,1] neg_hi:[0,1]
	v_pk_add_f32 v[192:193], v[104:105], v[100:101] neg_lo:[0,1] neg_hi:[0,1]
	v_pk_mul_f32 v[188:189], v[186:187], s[16:17] op_sel_hi:[1,0]
	v_pk_add_f32 v[190:191], v[190:191], v[192:193]
	v_pk_add_f32 v[192:193], v[172:173], v[184:185] op_sel:[0,1] op_sel_hi:[1,0] neg_lo:[0,1] neg_hi:[0,1]
	v_pk_add_f32 v[172:173], v[172:173], v[184:185] op_sel:[0,1] op_sel_hi:[1,0]
	v_pk_add_f32 v[198:199], v[98:99], v[102:103] neg_lo:[0,1] neg_hi:[0,1]
	v_pk_add_f32 v[184:185], v[172:173], v[188:189] op_sel:[0,1] op_sel_hi:[1,0]
	v_pk_add_f32 v[188:189], v[192:193], v[188:189] op_sel:[0,1] op_sel_hi:[1,0] neg_lo:[0,1] neg_hi:[0,1]
	v_mov_b32_e32 v173, v185
	v_mov_b32_e32 v172, v188
	v_pk_fma_f32 v[192:193], v[190:191], s[0:1], v[172:173] op_sel_hi:[1,0,1]
	v_pk_add_f32 v[172:173], v[98:99], v[102:103]
	v_pk_mul_f32 v[200:201], v[198:199], s[16:17] op_sel_hi:[1,0]
	v_pk_fma_f32 v[90:91], v[172:173], 0.5, v[90:91] op_sel_hi:[1,0,1] neg_lo:[1,0,0] neg_hi:[1,0,0]
	v_pk_add_f32 v[172:173], v[94:95], v[106:107] neg_lo:[0,1] neg_hi:[0,1]
	v_pk_add_f32 v[94:95], v[94:95], v[98:99] neg_lo:[0,1] neg_hi:[0,1]
	v_pk_mul_f32 v[194:195], v[172:173], s[6:7] op_sel_hi:[1,0]
	v_pk_add_f32 v[98:99], v[106:107], v[102:103] neg_lo:[0,1] neg_hi:[0,1]
	v_pk_add_f32 v[196:197], v[90:91], v[194:195] op_sel:[0,1] op_sel_hi:[1,0]
	v_pk_add_f32 v[90:91], v[90:91], v[194:195] op_sel:[0,1] op_sel_hi:[1,0] neg_lo:[0,1] neg_hi:[0,1]
	v_pk_add_f32 v[196:197], v[200:201], v[196:197] op_sel:[1,0] op_sel_hi:[0,1]
	v_pk_add_f32 v[94:95], v[94:95], v[98:99]
	v_pk_add_f32 v[90:91], v[90:91], v[200:201] op_sel:[0,1] op_sel_hi:[1,0] neg_lo:[0,1] neg_hi:[0,1]
	v_pk_fma_f32 v[98:99], v[94:95], s[0:1], v[196:197] op_sel_hi:[1,0,1]
	v_mov_b32_e32 v175, v173
	v_mov_b32_e32 v196, v90
	v_pk_add_f32 v[170:171], v[170:171], v[102:103]
	v_pk_mul_f32 v[102:103], v[174:175], s[0:1]
	v_pk_fma_f32 v[174:175], v[94:95], s[0:1], v[196:197] op_sel_hi:[1,0,1]
	v_mov_b32_e32 v177, v172
	v_pk_mul_f32 v[172:173], v[174:175], s[16:17] op_sel_hi:[1,0]
	v_pk_add_f32 v[180:181], v[170:171], v[106:107]
	v_pk_fma_f32 v[194:195], v[174:175], s[22:23], v[172:173] op_sel:[0,0,1] op_sel_hi:[1,0,0] neg_lo:[0,0,1] neg_hi:[0,0,1]
	v_pk_fma_f32 v[172:173], v[174:175], s[22:23], v[172:173] op_sel:[0,0,1] op_sel_hi:[1,0,0]
	v_pk_add_f32 v[170:171], v[178:179], v[180:181]
	v_mov_b32_e32 v195, v173
	v_pk_add_f32 v[172:173], v[192:193], v[194:195]
	s_barrier
	v_fmamk_f32 v106, v199, 0x3f737871, v169
	v_fmac_f32_e32 v169, 0xbf737871, v199
	ds_write_b128 v111, v[170:173]
	v_pk_add_f32 v[170:171], v[92:93], v[104:105]
	v_pk_add_f32 v[92:93], v[96:97], v[92:93] neg_lo:[0,1] neg_hi:[0,1]
	v_pk_add_f32 v[96:97], v[100:101], v[104:105] neg_lo:[0,1] neg_hi:[0,1]
	v_sub_f32_e32 v106, v106, v103
	v_add_f32_e32 v103, v103, v169
	v_pk_fma_f32 v[88:89], v[170:171], 0.5, v[88:89] op_sel_hi:[1,0,1] neg_lo:[1,0,0] neg_hi:[1,0,0]
	v_pk_add_f32 v[92:93], v[92:93], v[96:97]
	v_pk_mul_f32 v[96:97], v[186:187], s[6:7] op_sel_hi:[1,0]
	v_add_f32_e32 v106, v102, v106
	v_add_f32_e32 v102, v102, v103
	v_pk_fma_f32 v[94:95], v[94:95], s[0:1], v[90:91] op_sel_hi:[1,0,1]
	v_fmamk_f32 v103, v198, 0xbf737871, v202
	v_pk_mul_f32 v[90:91], v[176:177], s[0:1]
	v_pk_mul_f32 v[100:101], v[182:183], s[16:17] op_sel_hi:[1,0]
	v_pk_add_f32 v[104:105], v[88:89], v[96:97] op_sel:[0,1] op_sel_hi:[1,0]
	v_pk_add_f32 v[88:89], v[88:89], v[96:97] op_sel:[0,1] op_sel_hi:[1,0] neg_lo:[0,1] neg_hi:[0,1]
	v_add_f32_e32 v103, v91, v103
	v_fmac_f32_e32 v202, 0x3f737871, v198
	v_pk_add_f32 v[96:97], v[88:89], v[100:101] op_sel:[0,1] op_sel_hi:[1,0]
	v_pk_add_f32 v[100:101], v[104:105], v[100:101] op_sel:[0,1] op_sel_hi:[1,0] neg_lo:[0,1] neg_hi:[0,1]
	v_add_f32_e32 v176, v90, v103
	v_sub_f32_e32 v91, v202, v91
	v_mov_b32_e32 v88, v100
	v_mov_b32_e32 v89, v97
	v_add_f32_e32 v90, v90, v91
	v_pk_fma_f32 v[104:105], v[92:93], s[0:1], v[88:89] op_sel_hi:[1,0,1]
	v_pk_mul_f32 v[88:89], v[176:177], s[6:7] op_sel_hi:[0,1]
	s_mov_b32 s24, 0xbe9e377a
	s_mov_b32 s25, s6
	v_pk_fma_f32 v[170:171], v[106:107], s[20:21], v[88:89] neg_lo:[0,0,1] neg_hi:[0,0,1]
	v_pk_fma_f32 v[88:89], v[106:107], s[20:21], v[88:89] op_sel_hi:[0,1,1]
	v_pk_mul_f32 v[90:91], v[90:91], s[6:7] op_sel_hi:[0,1]
	v_mov_b32_e32 v97, v101
	v_mov_b32_e32 v171, v89
	v_pk_fma_f32 v[102:103], v[102:103], s[24:25], v[90:91] op_sel_hi:[0,1,1] neg_lo:[0,0,1] neg_hi:[0,0,1]
	v_pk_fma_f32 v[92:93], v[92:93], s[0:1], v[96:97] op_sel_hi:[1,0,1]
	v_pk_add_f32 v[88:89], v[104:105], v[170:171]
	v_pk_add_f32 v[90:91], v[92:93], v[102:103]
	ds_write_b128 v111, v[88:91] offset:16
	v_mov_b32_e32 v185, v189
	v_pk_mul_f32 v[88:89], v[94:95], s[12:13] op_sel:[1,0]
	v_pk_fma_f32 v[96:97], v[190:191], s[0:1], v[184:185] op_sel_hi:[1,0,1]
	v_pk_fma_f32 v[94:95], v[98:99], s[18:19], v[88:89] op_sel_hi:[0,1,1] neg_lo:[0,0,1] neg_hi:[0,0,1]
	v_pk_add_f32 v[88:89], v[96:97], v[94:95]
	v_pk_add_f32 v[90:91], v[178:179], v[180:181] neg_lo:[0,1] neg_hi:[0,1]
	v_pk_fma_f32 v[148:149], v[66:67], s[0:1], v[148:149] op_sel_hi:[1,0,1]
	v_pk_fma_f32 v[160:161], v[160:161], s[24:25], v[62:63] op_sel_hi:[0,1,1] neg_lo:[0,0,1] neg_hi:[0,0,1]
	ds_write_b128 v111, v[88:91] offset:32
	v_pk_add_f32 v[88:89], v[192:193], v[194:195] neg_lo:[0,1] neg_hi:[0,1]
	v_pk_add_f32 v[90:91], v[104:105], v[170:171] neg_lo:[0,1] neg_hi:[0,1]
	v_mov_b32_e32 v146, v11
	v_mov_b32_e32 v147, v139
	;; [unrolled: 1-line block ×4, first 2 shown]
	v_pk_add_f32 v[60:61], v[148:149], v[150:151] neg_lo:[0,1] neg_hi:[0,1]
	v_pk_add_f32 v[62:63], v[152:153], v[154:155] neg_lo:[0,1] neg_hi:[0,1]
	;; [unrolled: 1-line block ×4, first 2 shown]
	ds_write_b128 v111, v[88:91] offset:48
	v_pk_add_f32 v[88:89], v[92:93], v[102:103] neg_lo:[0,1] neg_hi:[0,1]
	v_pk_add_f32 v[90:91], v[96:97], v[94:95] neg_lo:[0,1] neg_hi:[0,1]
	ds_write_b128 v111, v[88:91] offset:64
	s_and_saveexec_b64 s[0:1], s[4:5]
	s_cbranch_execz .LBB0_17
; %bb.16:
	v_pk_add_f32 v[68:69], v[72:73], v[68:69]
	v_pk_add_f32 v[70:71], v[74:75], v[70:71]
	;; [unrolled: 1-line block ×3, first 2 shown]
	v_lshl_add_u32 v88, v168, 3, v166
	v_pk_add_f32 v[68:69], v[80:81], v[68:69]
	s_nop 0
	v_pk_add_f32 v[72:73], v[84:85], v[68:69]
	v_pk_add_f32 v[68:69], v[78:79], v[70:71]
	;; [unrolled: 1-line block ×4, first 2 shown]
	s_nop 0
	v_pk_add_f32 v[74:75], v[86:87], v[68:69]
	s_nop 0
	v_pk_add_f32 v[68:69], v[74:75], v[72:73]
	ds_write_b128 v88, v[68:71]
	v_pk_add_f32 v[68:69], v[152:153], v[154:155]
	v_pk_add_f32 v[70:71], v[156:157], v[160:161]
	ds_write_b128 v88, v[68:71] offset:16
	v_pk_add_f32 v[68:69], v[158:159], v[162:163]
	v_pk_add_f32 v[70:71], v[72:73], v[74:75] neg_lo:[0,1] neg_hi:[0,1]
	ds_write_b128 v88, v[68:71] offset:32
	ds_write_b128 v88, v[60:63] offset:48
	;; [unrolled: 1-line block ×3, first 2 shown]
.LBB0_17:
	s_or_b64 exec, exec, s[0:1]
	s_waitcnt lgkmcnt(0)
	s_barrier
	ds_read2_b64 v[68:71], v117 offset1:100
	v_add_u32_e32 v72, 0x400, v117
	ds_read2_b64 v[72:75], v72 offset0:72 offset1:172
	v_add_u32_e32 v158, 0x800, v117
	ds_read2_b64 v[84:87], v158 offset0:144 offset1:244
	s_waitcnt lgkmcnt(2)
	v_pk_mul_f32 v[88:89], v[8:9], v[70:71] op_sel:[0,1] op_sel_hi:[1,0]
	v_add_u32_e32 v80, 0x2400, v117
	v_mov_b32_e32 v88, v89
	v_pk_fma_f32 v[98:99], v[8:9], v[70:71], v[88:89] op_sel:[0,1,0] op_sel_hi:[1,0,1] neg_lo:[0,0,1] neg_hi:[0,0,1]
	s_waitcnt lgkmcnt(1)
	v_mul_f32_e32 v8, v11, v72
	v_fma_f32 v8, v10, v73, -v8
	s_waitcnt lgkmcnt(0)
	v_pk_mul_f32 v[88:89], v[18:19], v[84:85]
	v_mov_b32_e32 v9, v18
	v_mov_b32_e32 v88, v89
	v_pk_mul_f32 v[102:103], v[8:9], v[84:85]
	v_mov_b32_e32 v9, v84
	v_pk_fma_f32 v[100:101], v[18:19], v[84:85], v[88:89]
	v_pk_mul_f32 v[18:19], v[18:19], v[8:9]
	v_mov_b32_e32 v84, v13
	v_add_u32_e32 v9, 0x1000, v117
	v_mov_b32_e32 v18, v87
	ds_read2_b64 v[88:91], v9 offset0:88 offset1:188
	v_pk_mul_f32 v[84:85], v[84:85], v[86:87]
	v_add_u32_e32 v9, 0x1800, v117
	v_pk_mul_f32 v[92:93], v[12:13], v[86:87]
	v_pk_fma_f32 v[12:13], v[12:13], v[18:19], v[84:85] neg_lo:[0,0,1] neg_hi:[0,0,1]
	ds_read2_b64 v[84:87], v9 offset0:32 offset1:132
	ds_read2_b64 v[80:83], v80 offset0:48 offset1:148
	s_waitcnt lgkmcnt(2)
	v_pk_mul_f32 v[94:95], v[14:15], v[88:89]
	v_mov_b32_e32 v148, v92
	v_mov_b32_e32 v18, v95
	s_waitcnt lgkmcnt(1)
	v_pk_mul_f32 v[94:95], v[6:7], v[84:85]
	v_pk_fma_f32 v[104:105], v[14:15], v[88:89], v[18:19]
	v_add_f32_e32 v9, v94, v95
	v_pk_mul_f32 v[94:95], v[36:37], v[86:87] op_sel:[0,1] op_sel_hi:[1,0]
	v_add_u32_e32 v159, 0x2800, v117
	v_mov_b32_e32 v18, v95
	s_waitcnt lgkmcnt(0)
	v_pk_mul_f32 v[94:95], v[32:33], v[82:83]
	v_add_u32_e32 v111, 0x1c00, v117
	v_mov_b32_e32 v149, v94
	v_mov_b32_e32 v94, v93
	v_pk_add_f32 v[148:149], v[148:149], v[94:95]
	ds_read2_b64 v[92:95], v159 offset0:120 offset1:220
	ds_read2_b64 v[76:79], v111 offset0:104 offset1:204
	v_mov_b32_e32 v152, v33
	v_mov_b32_e32 v150, v83
	v_pk_mul_f32 v[82:83], v[152:153], v[82:83]
	v_pk_mul_f32 v[106:107], v[4:5], v[90:91]
	v_pk_fma_f32 v[32:33], v[32:33], v[150:151], v[82:83] neg_lo:[0,0,1] neg_hi:[0,0,1]
	s_waitcnt lgkmcnt(1)
	v_pk_mul_f32 v[150:151], v[134:135], v[94:95]
	v_pk_mul_f32 v[82:83], v[34:35], v[92:93]
	v_mov_b32_e32 v152, v106
	v_mov_b32_e32 v153, v150
	;; [unrolled: 1-line block ×3, first 2 shown]
	s_waitcnt lgkmcnt(0)
	v_mul_f32_e32 v11, v39, v76
	v_mov_b32_e32 v82, v83
	v_pk_add_f32 v[106:107], v[152:153], v[150:151]
	v_sub_f32_e32 v151, v68, v9
	v_mov_b32_e32 v150, v149
	v_pk_fma_f32 v[36:37], v[36:37], v[86:87], v[18:19] op_sel:[0,1,0] op_sel_hi:[1,0,1] neg_lo:[0,0,1] neg_hi:[0,0,1]
	v_fma_f32 v18, v38, v77, -v11
	v_mul_f32_e32 v11, v43, v80
	v_pk_fma_f32 v[82:83], v[34:35], v[92:93], v[82:83]
	v_pk_add_f32 v[154:155], v[148:149], v[150:151] neg_lo:[0,1] neg_hi:[0,1]
	v_mul_f32_e32 v105, v42, v81
	v_pk_add_f32 v[32:33], v[12:13], v[32:33] neg_lo:[0,1] neg_hi:[0,1]
	v_fma_f32 v39, v148, 2.0, -v154
	v_sub_f32_e32 v148, v106, v107
	v_mov_b32_e32 v9, v103
	v_mov_b32_e32 v83, v11
	;; [unrolled: 1-line block ×3, first 2 shown]
	v_fma_f32 v149, v12, 2.0, -v32
	v_fma_f32 v160, v106, 2.0, -v148
	v_pk_add_f32 v[106:107], v[8:9], v[18:19] neg_lo:[0,1] neg_hi:[0,1]
	v_pk_add_f32 v[12:13], v[104:105], v[82:83] neg_lo:[0,1] neg_hi:[0,1]
	v_mov_b32_e32 v97, v74
	v_mov_b32_e32 v102, v87
	v_pk_add_f32 v[82:83], v[106:107], v[12:13] neg_lo:[0,1] neg_hi:[0,1]
	v_mov_b32_e32 v71, v75
	v_pk_mul_f32 v[96:97], v[16:17], v[96:97]
	v_mov_b32_e32 v103, v78
	v_fma_f32 v101, v107, 2.0, -v83
	v_fma_f32 v156, v8, 2.0, -v106
	;; [unrolled: 1-line block ×3, first 2 shown]
	v_pk_fma_f32 v[106:107], v[138:139], v[70:71], v[96:97]
	v_pk_fma_f32 v[70:71], v[138:139], v[70:71], v[96:97] neg_lo:[0,0,1] neg_hi:[0,0,1]
	v_mov_b32_e32 v96, v86
	v_mov_b32_e32 v97, v79
	v_pk_mul_f32 v[102:103], v[40:41], v[102:103]
	v_mov_b32_e32 v37, 2.0
	v_pk_fma_f32 v[86:87], v[140:141], v[86:87], v[102:103]
	v_pk_fma_f32 v[96:97], v[140:141], v[96:97], v[102:103] neg_lo:[0,0,1] neg_hi:[0,0,1]
	v_mov_b32_e32 v107, v71
	v_mov_b32_e32 v87, v97
	v_pk_add_f32 v[96:97], v[98:99], v[36:37] op_sel_hi:[0,1] neg_lo:[0,1] neg_hi:[0,1]
	v_pk_mul_f32 v[36:37], v[98:99], v[36:37] op_sel_hi:[0,1]
	v_mov_b32_e32 v97, v37
	v_pk_add_f32 v[36:37], v[106:107], v[86:87] neg_lo:[0,1] neg_hi:[0,1]
	v_mov_b32_e32 v155, v96
	v_sub_f32_e32 v11, v37, v148
	v_pk_add_f32 v[86:87], v[96:97], v[154:155] neg_lo:[0,1] neg_hi:[0,1]
	v_mul_f32_e32 v148, 0x3f3504f3, v11
	v_mov_b32_e32 v150, 0x3f3504f3
	v_add_f32_e32 v33, v71, v71
	v_pk_add_f32 v[98:99], v[86:87], v[148:149]
	v_pk_add_f32 v[102:103], v[86:87], v[148:149] neg_lo:[0,1] neg_hi:[0,1]
	v_pk_mul_f32 v[18:19], v[82:83], v[150:151]
	v_pk_add_f32 v[8:9], v[82:83], v[150:151]
	v_fma_f32 v16, v106, 2.0, -v36
	v_mov_b32_e32 v99, v103
	v_pk_add_f32 v[102:103], v[32:33], v[36:37]
	v_pk_add_f32 v[32:33], v[32:33], v[36:37] neg_lo:[0,1] neg_hi:[0,1]
	v_fma_f32 v83, v37, 2.0, -v11
	v_mov_b32_e32 v37, v42
	v_mov_b32_e32 v106, v85
	;; [unrolled: 1-line block ×4, first 2 shown]
	v_add_f32_e32 v97, v36, v36
	v_mov_b32_e32 v36, v6
	v_mov_b32_e32 v107, v80
	v_pk_mul_f32 v[42:43], v[42:43], v[84:85]
	v_add_f32_e32 v152, v69, v69
	v_pk_fma_f32 v[6:7], v[6:7], v[106:107], v[42:43] neg_lo:[0,0,1] neg_hi:[0,0,1]
	v_pk_fma_f32 v[36:37], v[36:37], v[106:107], v[42:43]
	v_mov_b32_e32 v42, v73
	v_mov_b32_e32 v7, v37
	v_mov_b32_e32 v36, v69
	v_mov_b32_e32 v37, v100
	v_pk_add_f32 v[6:7], v[36:37], v[6:7] neg_lo:[0,1] neg_hi:[0,1]
	v_mov_b32_e32 v11, v17
	v_mov_b32_e32 v153, v6
	;; [unrolled: 1-line block ×3, first 2 shown]
	v_pk_add_f32 v[36:37], v[152:153], v[6:7] neg_lo:[0,1] neg_hi:[0,1]
	v_mov_b32_e32 v43, v74
	v_pk_mul_f32 v[10:11], v[10:11], v[72:73]
	v_fma_f32 v68, v68, 2.0, -v151
	v_sub_f32_e32 v70, v16, v39
	v_fma_f32 v100, v100, 2.0, -v7
	v_mov_b32_e32 v69, v36
	v_pk_fma_f32 v[10:11], v[146:147], v[42:43], v[10:11]
	v_mov_b32_e32 v42, v14
	v_mov_b32_e32 v14, v77
	;; [unrolled: 1-line block ×4, first 2 shown]
	v_fma_f32 v138, v96, 2.0, -v86
	v_fma_f32 v96, v6, 2.0, -v37
	v_pk_add_f32 v[6:7], v[68:69], v[100:101] neg_lo:[0,1] neg_hi:[0,1]
	v_mov_b32_e32 v43, v4
	v_mov_b32_e32 v4, v15
	;; [unrolled: 1-line block ×3, first 2 shown]
	v_pk_mul_f32 v[38:39], v[38:39], v[76:77]
	v_fma_f32 v32, v68, 2.0, -v6
	v_mov_b32_e32 v68, v89
	v_mov_b32_e32 v89, v90
	v_pk_fma_f32 v[14:15], v[144:145], v[14:15], v[38:39]
	v_mov_b32_e32 v39, v134
	v_mov_b32_e32 v40, v93
	;; [unrolled: 1-line block ×5, first 2 shown]
	v_pk_mul_f32 v[4:5], v[4:5], v[88:89]
	v_mov_b32_e32 v38, v34
	v_mov_b32_e32 v41, v95
	v_pk_mul_f32 v[34:35], v[134:135], v[92:93]
	v_pk_fma_f32 v[4:5], v[42:43], v[68:69], v[4:5] neg_lo:[0,0,1] neg_hi:[0,0,1]
	v_pk_fma_f32 v[34:35], v[38:39], v[40:41], v[34:35] neg_lo:[0,0,1] neg_hi:[0,0,1]
	v_pk_add_f32 v[14:15], v[10:11], v[14:15] neg_lo:[0,1] neg_hi:[0,1]
	v_pk_add_f32 v[34:35], v[4:5], v[34:35] neg_lo:[0,1] neg_hi:[0,1]
	v_fma_f32 v105, v104, 2.0, -v12
	v_fma_f32 v104, v4, 2.0, -v34
	;; [unrolled: 1-line block ×4, first 2 shown]
	v_sub_f32_e32 v17, v4, v160
	v_pk_add_f32 v[10:11], v[14:15], v[34:35]
	v_fma_f32 v5, v5, 2.0, -v35
	v_fma_f32 v38, v4, 2.0, -v17
	v_mul_f32_e32 v4, 0x3f3504f3, v11
	s_mov_b32 s0, 0x3f3504f3
	v_pk_fma_f32 v[14:15], v[14:15], 2.0, v[10:11] op_sel_hi:[1,0,1] neg_lo:[0,0,1] neg_hi:[0,0,1]
	v_mul_f32_e32 v39, 0x3f3504f3, v10
	v_pk_add_f32 v[42:43], v[102:103], v[4:5]
	v_pk_add_f32 v[10:11], v[32:33], v[4:5] neg_lo:[0,1] neg_hi:[0,1]
	v_mul_f32_e32 v82, 0x3f3504f3, v13
	v_pk_mul_f32 v[34:35], v[14:15], s[0:1] op_sel_hi:[1,0]
	v_mov_b32_e32 v43, v11
	v_fma_f32 v69, v33, 2.0, -v11
	v_mul_f32_e32 v11, 0x3f3504f3, v83
	v_fmamk_f32 v5, v83, 0xbf3504f3, v138
	v_mov_b32_e32 v83, v102
	v_fma_f32 v8, v151, 2.0, -v9
	v_sub_f32_e32 v33, v5, v35
	v_pk_add_f32 v[72:73], v[96:97], v[82:83] neg_lo:[0,1] neg_hi:[0,1]
	v_sub_f32_e32 v34, v8, v34
	v_pk_fma_f32 v[14:15], v[14:15], s[0:1], v[72:73] op_sel_hi:[1,0,1] neg_lo:[1,0,0] neg_hi:[1,0,0]
	v_mul_f32_e32 v10, 0x3ec3ef15, v33
	v_fmac_f32_e32 v34, 0x3f3504f3, v13
	v_pk_add_f32 v[10:11], v[14:15], v[10:11]
	v_fma_f32 v8, v8, 2.0, -v34
	v_fma_f32 v15, v73, 2.0, -v11
	;; [unrolled: 1-line block ×3, first 2 shown]
	v_fmamk_f32 v74, v15, 0xbf6c835e, v8
	v_mov_b32_e32 v149, v70
	v_mov_b32_e32 v71, v99
	v_pk_add_f32 v[40:41], v[156:157], v[104:105] neg_lo:[0,1] neg_hi:[0,1]
	v_mov_b32_e32 v5, v17
	v_fmac_f32_e32 v74, 0x3ec3ef15, v35
	v_mov_b32_e32 v17, v87
	v_fma_f32 v68, v157, 2.0, -v41
	v_pk_add_f32 v[42:43], v[148:149], v[42:43]
	v_pk_add_f32 v[72:73], v[98:99], v[4:5] neg_lo:[0,1] neg_hi:[0,1]
	v_fma_f32 v76, v8, 2.0, -v74
	v_fma_f32 v8, v96, 2.0, -v14
	v_pk_fma_f32 v[16:17], v[16:17], 2.0, v[70:71] op_sel_hi:[1,0,1] neg_lo:[0,0,1] neg_hi:[0,0,1]
	v_add_f32_e32 v12, v156, v156
	v_fma_f32 v13, v86, 2.0, -v72
	v_mov_b32_e32 v4, v43
	v_mov_b32_e32 v5, v73
	v_sub_f32_e32 v83, v32, v68
	v_mov_b32_e32 v85, 0x3ec3ef15
	v_mov_b32_e32 v84, v40
	v_fmamk_f32 v75, v35, 0xbf6c835e, v8
	v_mul_f32_e32 v68, 0x3ec3ef15, v11
	v_mov_b32_e32 v35, v17
	v_pk_fma_f32 v[4:5], v[70:71], 2.0, v[4:5] op_sel_hi:[1,0,1] neg_lo:[0,0,1] neg_hi:[0,0,1]
	v_pk_add_f32 v[88:89], v[12:13], v[40:41] neg_lo:[0,1] neg_hi:[0,1]
	v_pk_mul_f32 v[84:85], v[12:13], v[84:85]
	v_sub_f32_e32 v80, v16, v38
	v_pk_add_f32 v[70:71], v[34:35], v[68:69]
	v_pk_add_f32 v[68:69], v[16:17], v[68:69] neg_lo:[0,1] neg_hi:[0,1]
	v_mov_b32_e32 v19, v9
	v_mov_b32_e32 v89, v85
	v_pk_add_f32 v[84:85], v[6:7], v[40:41]
	v_pk_add_f32 v[40:41], v[6:7], v[40:41] neg_lo:[0,1] neg_hi:[0,1]
	v_mul_f32_e32 v82, 0x3f6c835e, v33
	v_mov_b32_e32 v71, v69
	v_mov_b32_e32 v68, v80
	;; [unrolled: 1-line block ×4, first 2 shown]
	v_pk_fma_f32 v[16:17], v[16:17], 2.0, v[68:69] op_sel_hi:[1,0,1] neg_lo:[0,0,1] neg_hi:[0,0,1]
	v_pk_add_f32 v[68:69], v[82:83], v[70:71]
	v_pk_add_f32 v[70:71], v[18:19], v[38:39]
	v_mov_b32_e32 v19, v18
	v_mov_b32_e32 v18, v39
	v_pk_fma_f32 v[90:91], v[6:7], 2.0, v[84:85] op_sel_hi:[1,0,1] neg_lo:[0,0,1] neg_hi:[0,0,1]
	v_fmac_f32_e32 v75, 0xbec3ef15, v15
	v_pk_add_f32 v[38:39], v[70:71], v[18:19]
	v_pk_add_f32 v[18:19], v[70:71], v[18:19] neg_lo:[0,1] neg_hi:[0,1]
	v_pk_mul_f32 v[78:79], v[4:5], s[0:1] op_sel_hi:[1,0]
	v_fma_f32 v77, v8, 2.0, -v75
	v_pk_fma_f32 v[92:93], v[4:5], s[0:1], v[90:91] op_sel_hi:[1,0,1] neg_lo:[1,0,0] neg_hi:[1,0,0]
	v_fma_f32 v12, v9, 2.0, -v39
	v_mov_b32_e32 v8, v7
	v_mov_b32_e32 v9, v18
	s_mov_b32 s6, 0x3ec3ef15
	v_fma_f32 v94, v102, 2.0, -v42
	s_mov_b32 s12, 0x3f6c835e
	v_pk_add_f32 v[4:5], v[92:93], v[78:79] op_sel:[0,1] op_sel_hi:[1,0]
	v_pk_add_f32 v[78:79], v[92:93], v[78:79] op_sel:[0,1] op_sel_hi:[1,0] neg_lo:[0,1] neg_hi:[0,1]
	s_mov_b32 s7, s0
	s_mov_b32 s13, s0
	v_pk_fma_f32 v[36:37], v[36:37], 2.0, v[8:9] op_sel_hi:[1,0,1] neg_lo:[0,0,1] neg_hi:[0,0,1]
	v_mov_b32_e32 v8, v39
	v_mov_b32_e32 v9, v84
	v_mul_f32_e32 v81, 0x3f6c835e, v94
	v_mov_b32_e32 v5, v79
	v_pk_mul_f32 v[78:79], v[72:73], s[6:7]
	v_pk_add_f32 v[88:89], v[36:37], v[88:89] neg_lo:[0,1] neg_hi:[0,1]
	v_pk_fma_f32 v[8:9], v[42:43], s[12:13], v[8:9]
	v_mul_f32_e32 v78, 0x3f6c835e, v72
	v_fmamk_f32 v6, v94, 0xbec3ef15, v12
	v_pk_fma_f32 v[70:71], v[72:73], s[6:7], v[8:9]
	v_mov_b32_e32 v19, v41
	v_mov_b32_e32 v33, v36
	v_mov_b32_e32 v40, v83
	v_mov_b32_e32 v41, v88
	v_pk_add_f32 v[72:73], v[88:89], v[80:81] neg_lo:[0,1] neg_hi:[0,1]
	v_fmac_f32_e32 v6, 0x3f6c835e, v13
	v_pk_fma_f32 v[32:33], v[32:33], 2.0, v[40:41] op_sel_hi:[1,0,1] neg_lo:[0,0,1] neg_hi:[0,0,1]
	v_mov_b32_e32 v13, v37
	v_mov_b32_e32 v7, v73
	v_fmac_f32_e32 v10, 0xbf6c835e, v11
	v_pk_mul_f32 v[92:93], v[42:43], s[12:13]
	v_pk_fma_f32 v[86:87], v[90:91], 2.0, v[4:5] op_sel_hi:[1,0,1] neg_lo:[0,0,1] neg_hi:[0,0,1]
	v_pk_add_f32 v[16:17], v[32:33], v[16:17] neg_lo:[0,1] neg_hi:[0,1]
	v_pk_fma_f32 v[12:13], v[12:13], 2.0, v[6:7] op_sel_hi:[1,0,1] neg_lo:[0,0,1] neg_hi:[0,0,1]
	v_mul_f32_e32 v92, 0x3ec3ef15, v42
	s_barrier
	v_mov_b32_e32 v35, v14
	v_mov_b32_e32 v14, v68
	v_mov_b32_e32 v15, v10
	v_pk_add_f32 v[8:9], v[18:19], v[78:79]
	v_pk_fma_f32 v[32:33], v[32:33], 2.0, v[16:17] op_sel_hi:[1,0,1] neg_lo:[0,0,1] neg_hi:[0,0,1]
	ds_write2_b64 v167, v[86:87], v[12:13] offset0:20 offset1:30
	v_mov_b32_e32 v12, v69
	v_mov_b32_e32 v13, v72
	v_pk_fma_f32 v[34:35], v[34:35], 2.0, v[14:15] op_sel_hi:[1,0,1] neg_lo:[0,0,1] neg_hi:[0,0,1]
	v_pk_add_f32 v[8:9], v[8:9], v[92:93] neg_lo:[0,1] neg_hi:[0,1]
	ds_write2_b64 v167, v[32:33], v[76:77] offset1:10
	v_pk_fma_f32 v[32:33], v[40:41], 2.0, v[12:13] op_sel_hi:[1,0,1] neg_lo:[0,0,1] neg_hi:[0,0,1]
	v_mov_b32_e32 v90, v39
	v_mov_b32_e32 v91, v18
	v_mov_b32_e32 v18, v70
	v_mov_b32_e32 v19, v8
	ds_write2_b64 v167, v[32:33], v[34:35] offset0:40 offset1:50
	v_mov_b32_e32 v32, v71
	v_mov_b32_e32 v33, v9
	v_pk_fma_f32 v[38:39], v[90:91], 2.0, v[18:19] op_sel_hi:[1,0,1] neg_lo:[0,0,1] neg_hi:[0,0,1]
	v_pk_fma_f32 v[34:35], v[84:85], 2.0, v[32:33] op_sel_hi:[1,0,1] neg_lo:[0,0,1] neg_hi:[0,0,1]
	ds_write2_b64 v167, v[34:35], v[38:39] offset0:60 offset1:70
	ds_write2_b64 v167, v[16:17], v[74:75] offset0:80 offset1:90
	;; [unrolled: 1-line block ×5, first 2 shown]
	v_add_u32_e32 v7, 0x1400, v117
	s_waitcnt lgkmcnt(0)
	s_barrier
	ds_read2_b64 v[12:15], v117 offset1:160
	ds_read2_b64 v[40:43], v158 offset0:64 offset1:224
	ds_read2_b64 v[36:39], v7 offset1:160
	ds_read2_b64 v[32:35], v111 offset0:64 offset1:224
	ds_read2_b64 v[16:19], v159 offset1:160
	s_and_saveexec_b64 s[0:1], s[2:3]
	s_xor_b64 s[0:1], exec, s[0:1]
	s_or_saveexec_b64 s[0:1], s[0:1]
	v_mov_b32_e32 v90, v56
	v_mov_b32_e32 v91, v56
	;; [unrolled: 1-line block ×27, first 2 shown]
	s_xor_b64 exec, exec, s[0:1]
	s_cbranch_execz .LBB0_19
; %bb.18:
	v_add_u32_e32 v8, 0xc00, v117
	v_add_u32_e32 v4, 0x200, v117
	ds_read2_b64 v[92:95], v8 offset0:36 offset1:196
	v_add_u32_e32 v8, 0x1600, v117
	ds_read2_b64 v[4:7], v4 offset0:36 offset1:196
	ds_read2_b64 v[8:11], v8 offset0:36 offset1:196
	v_add_u32_e32 v60, 0x2000, v117
	v_add_u32_e32 v64, 0x2a00, v117
	ds_read2_b64 v[60:63], v60 offset0:36 offset1:196
	ds_read2_b64 v[64:67], v64 offset0:36 offset1:196
	s_waitcnt lgkmcnt(2)
	v_mov_b32_e32 v70, v10
	v_mov_b32_e32 v71, v8
	;; [unrolled: 1-line block ×8, first 2 shown]
.LBB0_19:
	s_or_b64 exec, exec, s[0:1]
	s_waitcnt lgkmcnt(4)
	v_pk_mul_f32 v[56:57], v[56:57], v[14:15]
	s_waitcnt lgkmcnt(3)
	v_pk_mul_f32 v[58:59], v[58:59], v[40:41]
	v_pk_mul_f32 v[52:53], v[52:53], v[42:43]
	s_waitcnt lgkmcnt(2)
	v_pk_mul_f32 v[54:55], v[54:55], v[36:37]
	v_pk_fma_f32 v[94:95], v[90:91], v[14:15], v[56:57] op_sel:[0,0,1] op_sel_hi:[1,1,0]
	v_pk_fma_f32 v[14:15], v[90:91], v[14:15], v[56:57] op_sel:[0,0,1] op_sel_hi:[1,1,0] neg_lo:[0,0,1] neg_hi:[0,0,1]
	v_pk_fma_f32 v[56:57], v[88:89], v[40:41], v[58:59] op_sel:[0,0,1] op_sel_hi:[1,1,0]
	v_pk_fma_f32 v[40:41], v[88:89], v[40:41], v[58:59] op_sel:[0,0,1] op_sel_hi:[1,1,0] neg_lo:[0,0,1] neg_hi:[0,0,1]
	v_pk_mul_f32 v[48:49], v[48:49], v[38:39]
	s_waitcnt lgkmcnt(1)
	v_pk_mul_f32 v[50:51], v[50:51], v[32:33]
	v_mov_b32_e32 v57, v41
	v_pk_fma_f32 v[40:41], v[86:87], v[42:43], v[52:53] op_sel:[0,0,1] op_sel_hi:[1,1,0]
	v_pk_fma_f32 v[42:43], v[86:87], v[42:43], v[52:53] op_sel:[0,0,1] op_sel_hi:[1,1,0] neg_lo:[0,0,1] neg_hi:[0,0,1]
	v_pk_fma_f32 v[52:53], v[84:85], v[36:37], v[54:55] op_sel:[0,0,1] op_sel_hi:[1,1,0]
	v_pk_fma_f32 v[36:37], v[84:85], v[36:37], v[54:55] op_sel:[0,0,1] op_sel_hi:[1,1,0] neg_lo:[0,0,1] neg_hi:[0,0,1]
	v_pk_mul_f32 v[44:45], v[44:45], v[34:35]
	s_waitcnt lgkmcnt(0)
	v_pk_mul_f32 v[46:47], v[46:47], v[16:17]
	v_mov_b32_e32 v53, v37
	v_pk_fma_f32 v[36:37], v[82:83], v[38:39], v[48:49] op_sel:[0,0,1] op_sel_hi:[1,1,0]
	v_pk_fma_f32 v[38:39], v[82:83], v[38:39], v[48:49] op_sel:[0,0,1] op_sel_hi:[1,1,0] neg_lo:[0,0,1] neg_hi:[0,0,1]
	v_pk_fma_f32 v[48:49], v[80:81], v[32:33], v[50:51] op_sel:[0,0,1] op_sel_hi:[1,1,0]
	v_pk_fma_f32 v[32:33], v[80:81], v[32:33], v[50:51] op_sel:[0,0,1] op_sel_hi:[1,1,0] neg_lo:[0,0,1] neg_hi:[0,0,1]
	v_pk_mul_f32 v[92:93], v[142:143], v[18:19]
	v_mov_b32_e32 v49, v33
	v_pk_fma_f32 v[32:33], v[78:79], v[34:35], v[44:45] op_sel:[0,0,1] op_sel_hi:[1,1,0]
	v_pk_fma_f32 v[34:35], v[78:79], v[34:35], v[44:45] op_sel:[0,0,1] op_sel_hi:[1,1,0] neg_lo:[0,0,1] neg_hi:[0,0,1]
	v_pk_fma_f32 v[44:45], v[76:77], v[16:17], v[46:47] op_sel:[0,0,1] op_sel_hi:[1,1,0]
	v_pk_fma_f32 v[16:17], v[76:77], v[16:17], v[46:47] op_sel:[0,0,1] op_sel_hi:[1,1,0] neg_lo:[0,0,1] neg_hi:[0,0,1]
	v_mov_b32_e32 v76, v36
	v_mov_b32_e32 v45, v17
	v_pk_fma_f32 v[16:17], v[74:75], v[18:19], v[92:93] op_sel:[0,0,1] op_sel_hi:[1,1,0]
	v_pk_fma_f32 v[18:19], v[74:75], v[18:19], v[92:93] op_sel:[0,0,1] op_sel_hi:[1,1,0] neg_lo:[0,0,1] neg_hi:[0,0,1]
	v_mov_b32_e32 v74, v40
	v_mov_b32_e32 v75, v16
	;; [unrolled: 1-line block ×3, first 2 shown]
	v_pk_add_f32 v[78:79], v[74:75], v[76:77] neg_lo:[0,1] neg_hi:[0,1]
	v_mov_b32_e32 v37, v39
	v_mov_b32_e32 v33, v35
	;; [unrolled: 1-line block ×5, first 2 shown]
	v_pk_add_f32 v[50:51], v[36:37], v[32:33]
	v_pk_add_f32 v[58:59], v[36:37], v[32:33] neg_lo:[0,1] neg_hi:[0,1]
	v_pk_add_f32 v[78:79], v[78:79], v[14:15]
	s_mov_b32 s0, 0x3e9e377a
	v_fma_f32 v7, -0.5, v50, v94
	v_pk_add_f32 v[54:55], v[40:41], v[16:17] neg_lo:[0,1] neg_hi:[0,1]
	v_mov_b32_e32 v79, v59
	s_mov_b32 s1, 0x3f167918
	v_fmamk_f32 v11, v55, 0xbf737871, v7
	v_pk_mul_f32 v[78:79], v[78:79], s[0:1]
	v_fmac_f32_e32 v7, 0x3f737871, v55
	v_mov_b32_e32 v95, v15
	v_sub_f32_e32 v11, v11, v79
	v_add_f32_e32 v7, v79, v7
	v_add_f32_e32 v14, v78, v11
	;; [unrolled: 1-line block ×3, first 2 shown]
	v_pk_add_f32 v[78:79], v[40:41], v[16:17]
	v_pk_add_f32 v[74:75], v[76:77], v[74:75] neg_lo:[0,1] neg_hi:[0,1]
	v_pk_add_f32 v[40:41], v[94:95], v[40:41]
	v_mov_b32_e32 v18, v75
	v_pk_add_f32 v[36:37], v[40:41], v[36:37]
	v_mov_b32_e32 v7, v94
	v_pk_add_f32 v[74:75], v[74:75], v[18:19]
	v_pk_add_f32 v[32:33], v[36:37], v[32:33]
	v_mov_b32_e32 v18, v43
	v_mov_b32_e32 v34, v39
	v_fmac_f32_e32 v7, -0.5, v78
	v_mov_b32_e32 v75, v55
	v_pk_add_f32 v[16:17], v[32:33], v[16:17]
	v_pk_add_f32 v[32:33], v[18:19], v[34:35] neg_lo:[0,1] neg_hi:[0,1]
	v_fmamk_f32 v11, v59, 0x3f737871, v7
	v_pk_mul_f32 v[74:75], v[74:75], s[0:1]
	v_fmac_f32_e32 v7, 0xbf737871, v59
	v_mov_b32_e32 v36, v33
	v_add_f32_e32 v7, v75, v7
	v_pk_add_f32 v[32:33], v[32:33], v[36:37]
	v_sub_f32_e32 v11, v11, v75
	v_add_f32_e32 v50, v74, v7
	v_fma_f32 v7, -0.5, v51, v15
	v_mov_b32_e32 v33, v58
	v_pk_add_f32 v[18:19], v[34:35], v[18:19] neg_lo:[0,1] neg_hi:[0,1]
	v_add_f32_e32 v42, v74, v11
	v_fmamk_f32 v11, v54, 0x3f737871, v7
	v_pk_mul_f32 v[32:33], v[32:33], s[0:1]
	v_fmac_f32_e32 v7, 0xbf737871, v54
	v_mov_b32_e32 v34, v19
	s_mov_b32 s3, 0x3f737871
	v_add_f32_e32 v11, v33, v11
	v_sub_f32_e32 v7, v7, v33
	v_fmac_f32_e32 v15, -0.5, v79
	v_pk_add_f32 v[18:19], v[18:19], v[34:35]
	v_add_f32_e32 v36, v32, v11
	v_add_f32_e32 v32, v32, v7
	v_fmamk_f32 v7, v58, 0xbf737871, v15
	v_mov_b32_e32 v19, v54
	v_fmac_f32_e32 v15, 0x3f737871, v58
	v_pk_add_f32 v[54:55], v[52:53], v[48:49]
	v_pk_add_f32 v[58:59], v[56:57], v[44:45] neg_lo:[0,1] neg_hi:[0,1]
	s_mov_b32 s18, s3
	v_pk_fma_f32 v[54:55], v[54:55], 0.5, v[12:13] op_sel_hi:[1,0,1] neg_lo:[1,0,0] neg_hi:[1,0,0]
	v_pk_mul_f32 v[74:75], v[58:59], s[18:19] op_sel_hi:[1,0]
	v_pk_add_f32 v[76:77], v[52:53], v[48:49] neg_lo:[0,1] neg_hi:[0,1]
	s_mov_b32 s20, s1
	v_pk_add_f32 v[80:81], v[56:57], v[52:53] neg_lo:[0,1] neg_hi:[0,1]
	v_pk_add_f32 v[82:83], v[44:45], v[48:49] neg_lo:[0,1] neg_hi:[0,1]
	s_mov_b32 s16, 0x3f4f1bbd
	v_pk_add_f32 v[46:47], v[12:13], v[56:57]
	v_pk_mul_f32 v[18:19], v[18:19], s[0:1]
	v_pk_mul_f32 v[78:79], v[76:77], s[20:21] op_sel_hi:[1,0]
	v_pk_add_f32 v[80:81], v[80:81], v[82:83]
	v_pk_add_f32 v[82:83], v[54:55], v[74:75] op_sel:[0,1] op_sel_hi:[1,0] neg_lo:[0,1] neg_hi:[0,1]
	v_pk_add_f32 v[54:55], v[54:55], v[74:75] op_sel:[0,1] op_sel_hi:[1,0]
	s_mov_b32 s6, s1
	s_mov_b32 s7, s16
	v_pk_add_f32 v[46:47], v[46:47], v[52:53]
	v_add_f32_e32 v7, v19, v7
	v_pk_add_f32 v[54:55], v[54:55], v[78:79] op_sel:[0,1] op_sel_hi:[1,0]
	v_pk_add_f32 v[74:75], v[82:83], v[78:79] op_sel:[0,1] op_sel_hi:[1,0] neg_lo:[0,1] neg_hi:[0,1]
	s_mov_b32 s17, s1
	v_pk_mul_f32 v[36:37], v[36:37], s[6:7] op_sel_hi:[0,1]
	v_pk_add_f32 v[46:47], v[46:47], v[48:49]
	v_add_f32_e32 v34, v18, v7
	v_sub_f32_e32 v7, v15, v19
	v_mov_b32_e32 v78, v74
	v_mov_b32_e32 v79, v55
	v_pk_fma_f32 v[82:83], v[14:15], s[16:17], v[36:37] neg_lo:[0,0,1] neg_hi:[0,0,1]
	v_pk_fma_f32 v[14:15], v[14:15], s[16:17], v[36:37] op_sel_hi:[0,1,1]
	v_pk_add_f32 v[46:47], v[46:47], v[44:45]
	v_pk_fma_f32 v[78:79], v[80:81], s[0:1], v[78:79] op_sel_hi:[1,0,1]
	v_mov_b32_e32 v83, v15
	v_pk_add_f32 v[40:41], v[46:47], v[16:17]
	v_pk_add_f32 v[14:15], v[78:79], v[82:83]
	ds_write2_b64 v117, v[40:41], v[14:15] offset1:160
	v_pk_add_f32 v[14:15], v[56:57], v[44:45]
	s_mov_b32 s12, s3
	s_mov_b32 s13, s0
	v_pk_fma_f32 v[12:13], v[14:15], 0.5, v[12:13] op_sel_hi:[1,0,1] neg_lo:[1,0,0] neg_hi:[1,0,0]
	v_pk_add_f32 v[14:15], v[52:53], v[56:57] neg_lo:[0,1] neg_hi:[0,1]
	v_pk_add_f32 v[36:37], v[48:49], v[44:45] neg_lo:[0,1] neg_hi:[0,1]
	s_mov_b32 s2, s0
	v_pk_mul_f32 v[34:35], v[34:35], s[12:13] op_sel_hi:[0,1]
	v_pk_add_f32 v[14:15], v[14:15], v[36:37]
	v_pk_fma_f32 v[36:37], v[42:43], s[2:3], v[34:35] neg_lo:[0,0,1] neg_hi:[0,0,1]
	v_pk_fma_f32 v[34:35], v[42:43], s[2:3], v[34:35] op_sel_hi:[0,1,1]
	v_mov_b32_e32 v37, v35
	v_pk_mul_f32 v[34:35], v[76:77], s[18:19] op_sel_hi:[1,0]
	v_pk_mul_f32 v[40:41], v[58:59], s[20:21] op_sel_hi:[1,0]
	v_pk_add_f32 v[42:43], v[12:13], v[34:35] op_sel:[0,1] op_sel_hi:[1,0]
	v_pk_add_f32 v[12:13], v[12:13], v[34:35] op_sel:[0,1] op_sel_hi:[1,0] neg_lo:[0,1] neg_hi:[0,1]
	v_add_f32_e32 v18, v18, v7
	v_pk_add_f32 v[12:13], v[12:13], v[40:41] op_sel:[0,1] op_sel_hi:[1,0]
	v_pk_add_f32 v[34:35], v[42:43], v[40:41] op_sel:[0,1] op_sel_hi:[1,0] neg_lo:[0,1] neg_hi:[0,1]
	v_mov_b32_e32 v41, v13
	v_mov_b32_e32 v40, v34
	s_mov_b32 s18, 0xbe9e377a
	s_mov_b32 s19, s3
	v_pk_mul_f32 v[18:19], v[18:19], s[12:13] op_sel_hi:[0,1]
	v_mov_b32_e32 v13, v35
	v_pk_fma_f32 v[40:41], v[14:15], s[0:1], v[40:41] op_sel_hi:[1,0,1]
	v_pk_fma_f32 v[18:19], v[50:51], s[18:19], v[18:19] op_sel_hi:[0,1,1] neg_lo:[0,0,1] neg_hi:[0,0,1]
	v_pk_fma_f32 v[14:15], v[14:15], s[0:1], v[12:13] op_sel_hi:[1,0,1]
	v_pk_add_f32 v[42:43], v[40:41], v[36:37]
	v_pk_add_f32 v[34:35], v[14:15], v[18:19]
	v_add_u32_e32 v13, 0x800, v117
	s_mov_b32 s20, 0xbf4f1bbd
	s_mov_b32 s21, s1
	v_pk_mul_f32 v[32:33], v[32:33], s[6:7] op_sel_hi:[0,1]
	v_mov_b32_e32 v55, v75
	ds_write2_b64 v13, v[42:43], v[34:35] offset0:64 offset1:224
	v_pk_fma_f32 v[32:33], v[38:39], s[20:21], v[32:33] op_sel_hi:[0,1,1] neg_lo:[0,0,1] neg_hi:[0,0,1]
	v_pk_fma_f32 v[34:35], v[80:81], s[0:1], v[54:55] op_sel_hi:[1,0,1]
	v_pk_add_f32 v[16:17], v[46:47], v[16:17] neg_lo:[0,1] neg_hi:[0,1]
	v_pk_add_f32 v[38:39], v[34:35], v[32:33]
	v_add_u32_e32 v12, 0x1400, v117
	ds_write2_b64 v12, v[38:39], v[16:17] offset1:160
	v_pk_add_f32 v[16:17], v[78:79], v[82:83] neg_lo:[0,1] neg_hi:[0,1]
	v_pk_add_f32 v[36:37], v[40:41], v[36:37] neg_lo:[0,1] neg_hi:[0,1]
	v_add_u32_e32 v11, 0x1c00, v117
	ds_write2_b64 v11, v[16:17], v[36:37] offset0:64 offset1:224
	v_pk_add_f32 v[14:15], v[14:15], v[18:19] neg_lo:[0,1] neg_hi:[0,1]
	v_pk_add_f32 v[16:17], v[34:35], v[32:33] neg_lo:[0,1] neg_hi:[0,1]
	v_add_u32_e32 v7, 0x2800, v117
	ds_write2_b64 v7, v[14:15], v[16:17] offset1:160
	s_and_saveexec_b64 s[22:23], s[4:5]
	s_cbranch_execz .LBB0_21
; %bb.20:
	v_pk_mul_f32 v[14:15], v[2:3], v[72:73] op_sel_hi:[1,0]
	v_pk_mul_f32 v[16:17], v[30:31], v[8:9] op_sel:[0,1]
	v_pk_fma_f32 v[42:43], v[2:3], v[68:69], v[14:15] op_sel:[0,1,1] op_sel_hi:[1,1,0]
	v_pk_fma_f32 v[2:3], v[2:3], v[68:69], v[14:15] op_sel:[0,1,1] op_sel_hi:[1,1,0] neg_lo:[1,0,0] neg_hi:[1,0,0]
	v_pk_mul_f32 v[18:19], v[22:23], v[64:65] op_sel:[0,1]
	v_mov_b32_e32 v43, v3
	v_pk_fma_f32 v[2:3], v[30:31], v[70:71], v[16:17] op_sel:[0,1,1] op_sel_hi:[1,1,0]
	v_pk_fma_f32 v[14:15], v[30:31], v[70:71], v[16:17] op_sel:[0,1,1] op_sel_hi:[1,1,0] neg_lo:[1,0,0] neg_hi:[1,0,0]
	v_pk_mul_f32 v[32:33], v[26:27], v[60:61] op_sel:[0,1]
	v_mov_b32_e32 v3, v15
	v_pk_fma_f32 v[14:15], v[22:23], v[64:65], v[18:19] op_sel:[0,0,1] op_sel_hi:[1,1,0]
	v_pk_fma_f32 v[16:17], v[22:23], v[64:65], v[18:19] op_sel:[0,0,1] op_sel_hi:[1,0,0] neg_lo:[1,0,0] neg_hi:[1,0,0]
	v_pk_mul_f32 v[34:35], v[28:29], v[10:11] op_sel_hi:[1,0]
	v_pk_mul_f32 v[8:9], v[24:25], v[8:9] op_sel_hi:[1,0]
	v_pk_mul_f32 v[36:37], v[136:137], v[66:67] op_sel:[0,1]
	v_pk_mul_f32 v[38:39], v[20:21], v[62:63] op_sel:[0,1]
	v_mov_b32_e32 v15, v17
	v_pk_fma_f32 v[16:17], v[26:27], v[60:61], v[32:33] op_sel:[0,0,1] op_sel_hi:[1,1,0]
	v_pk_fma_f32 v[18:19], v[26:27], v[60:61], v[32:33] op_sel:[0,0,1] op_sel_hi:[1,0,0] neg_lo:[1,0,0] neg_hi:[1,0,0]
	v_pk_fma_f32 v[26:27], v[24:25], v[70:71], v[8:9] op_sel:[0,0,1] op_sel_hi:[1,1,0]
	v_mov_b32_e32 v17, v19
	v_pk_fma_f32 v[18:19], v[28:29], v[68:69], v[34:35] op_sel:[0,0,1] op_sel_hi:[1,1,0]
	v_pk_fma_f32 v[8:9], v[24:25], v[70:71], v[8:9] op_sel:[0,0,1] op_sel_hi:[1,0,0] neg_lo:[1,0,0] neg_hi:[1,0,0]
	v_pk_fma_f32 v[24:25], v[136:137], v[66:67], v[36:37] op_sel:[0,0,1] op_sel_hi:[1,1,0]
	v_pk_fma_f32 v[30:31], v[20:21], v[62:63], v[38:39] op_sel:[0,0,1] op_sel_hi:[1,1,0]
	v_pk_fma_f32 v[22:23], v[28:29], v[68:69], v[34:35] op_sel:[0,0,1] op_sel_hi:[1,0,0] neg_lo:[1,0,0] neg_hi:[1,0,0]
	v_mov_b32_e32 v32, v24
	v_mov_b32_e32 v33, v18
	;; [unrolled: 1-line block ×4, first 2 shown]
	v_pk_fma_f32 v[28:29], v[136:137], v[66:67], v[36:37] op_sel:[0,0,1] op_sel_hi:[1,0,0] neg_lo:[1,0,0] neg_hi:[1,0,0]
	v_pk_add_f32 v[36:37], v[32:33], v[34:35] neg_lo:[0,1] neg_hi:[0,1]
	v_pk_fma_f32 v[20:21], v[20:21], v[62:63], v[38:39] op_sel:[0,0,1] op_sel_hi:[1,0,0] neg_lo:[1,0,0] neg_hi:[1,0,0]
	v_mov_b32_e32 v8, v37
	v_pk_add_f32 v[36:37], v[36:37], v[8:9]
	v_mov_b32_e32 v22, v29
	v_mov_b32_e32 v8, v21
	;; [unrolled: 1-line block ×4, first 2 shown]
	v_pk_add_f32 v[20:21], v[22:23], v[8:9] neg_lo:[0,1] neg_hi:[0,1]
	v_pk_add_f32 v[8:9], v[8:9], v[22:23] neg_lo:[0,1] neg_hi:[0,1]
	v_pk_mul_f32 v[40:41], v[0:1], v[72:73] op_sel:[0,1]
	v_mov_b32_e32 v19, v23
	v_mov_b32_e32 v25, v29
	;; [unrolled: 1-line block ×3, first 2 shown]
	v_pk_add_f32 v[38:39], v[26:27], v[30:31]
	v_pk_fma_f32 v[44:45], v[0:1], v[6:7], v[40:41] op_sel:[0,0,1] op_sel_hi:[1,0,0]
	v_pk_fma_f32 v[0:1], v[0:1], v[6:7], v[40:41] op_sel:[0,0,1] op_sel_hi:[1,0,0] neg_lo:[1,0,0] neg_hi:[1,0,0]
	v_pk_add_f32 v[40:41], v[18:19], v[24:25] neg_lo:[0,1] neg_hi:[0,1]
	v_pk_add_f32 v[28:29], v[34:35], v[32:33] neg_lo:[0,1] neg_hi:[0,1]
	v_pk_add_f32 v[32:33], v[24:25], v[18:19]
	v_pk_add_f32 v[8:9], v[8:9], v[22:23]
	v_mov_b32_e32 v45, v1
	v_pk_add_f32 v[46:47], v[26:27], v[30:31] neg_lo:[0,1] neg_hi:[0,1]
	v_mov_b32_e32 v6, v21
	v_fma_f32 v39, -0.5, v39, v1
	v_mov_b32_e32 v10, v29
	v_fmac_f32_e32 v1, -0.5, v33
	v_mov_b32_e32 v9, v40
	v_fma_f32 v38, -0.5, v38, v44
	v_mov_b32_e32 v37, v47
	v_pk_add_f32 v[20:21], v[20:21], v[6:7]
	v_pk_add_f32 v[28:29], v[28:29], v[10:11]
	v_mov_b32_e32 v34, v44
	v_fmamk_f32 v22, v46, 0x3f737871, v1
	v_pk_mul_f32 v[8:9], v[8:9], s[0:1]
	v_fmac_f32_e32 v1, 0xbf737871, v46
	v_pk_add_f32 v[18:19], v[18:19], v[44:45]
	v_fmamk_f32 v0, v41, 0x3f737871, v38
	v_pk_mul_f32 v[36:37], v[36:37], s[0:1]
	v_mov_b32_e32 v21, v46
	v_mov_b32_e32 v29, v41
	v_fmac_f32_e32 v34, -0.5, v32
	v_sub_f32_e32 v22, v22, v9
	v_add_f32_e32 v1, v9, v1
	v_fmac_f32_e32 v38, 0xbf737871, v41
	v_pk_add_f32 v[18:19], v[26:27], v[18:19]
	v_add_f32_e32 v0, v37, v0
	v_fmamk_f32 v6, v40, 0xbf737871, v39
	v_pk_mul_f32 v[20:21], v[20:21], s[0:1]
	v_pk_mul_f32 v[28:29], v[28:29], s[0:1]
	v_fmamk_f32 v10, v47, 0xbf737871, v34
	v_add_f32_e32 v22, v8, v22
	v_fmac_f32_e32 v34, 0x3f737871, v47
	v_add_f32_e32 v8, v8, v1
	v_sub_f32_e32 v1, v38, v37
	v_fmac_f32_e32 v39, 0x3f737871, v40
	v_pk_add_f32 v[18:19], v[30:31], v[18:19]
	v_pk_add_f32 v[26:27], v[16:17], v[2:3]
	v_pk_add_f32 v[30:31], v[42:43], v[14:15] neg_lo:[0,1] neg_hi:[0,1]
	s_mov_b32 s24, s3
	v_add_f32_e32 v0, v36, v0
	v_sub_f32_e32 v6, v6, v21
	v_sub_f32_e32 v23, v34, v29
	v_add_f32_e32 v32, v36, v1
	v_add_f32_e32 v1, v21, v39
	v_pk_add_f32 v[34:35], v[42:43], v[4:5]
	v_pk_fma_f32 v[26:27], v[26:27], 0.5, v[4:5] op_sel_hi:[1,0,1] neg_lo:[1,0,0] neg_hi:[1,0,0]
	v_pk_mul_f32 v[36:37], v[30:31], s[24:25] op_sel_hi:[1,0]
	v_pk_add_f32 v[38:39], v[2:3], v[16:17] neg_lo:[0,1] neg_hi:[0,1]
	s_mov_b32 s26, s1
	v_pk_add_f32 v[44:45], v[42:43], v[2:3] neg_lo:[0,1] neg_hi:[0,1]
	v_pk_add_f32 v[46:47], v[14:15], v[16:17] neg_lo:[0,1] neg_hi:[0,1]
	v_add_f32_e32 v6, v20, v6
	v_add_f32_e32 v20, v20, v1
	v_pk_add_f32 v[34:35], v[2:3], v[34:35]
	v_pk_mul_f32 v[40:41], v[38:39], s[26:27] op_sel_hi:[1,0]
	v_pk_add_f32 v[44:45], v[46:47], v[44:45]
	v_pk_add_f32 v[46:47], v[26:27], v[36:37] op_sel:[0,1] op_sel_hi:[1,0] neg_lo:[0,1] neg_hi:[0,1]
	v_pk_add_f32 v[26:27], v[26:27], v[36:37] op_sel:[0,1] op_sel_hi:[1,0]
	v_add_f32_e32 v10, v29, v10
	v_pk_add_f32 v[34:35], v[16:17], v[34:35]
	v_pk_add_f32 v[26:27], v[26:27], v[40:41] op_sel:[0,1] op_sel_hi:[1,0]
	v_pk_add_f32 v[36:37], v[46:47], v[40:41] op_sel:[0,1] op_sel_hi:[1,0] neg_lo:[0,1] neg_hi:[0,1]
	v_pk_mul_f32 v[20:21], v[20:21], s[6:7] op_sel_hi:[0,1]
	v_add_f32_e32 v10, v28, v10
	v_add_f32_e32 v28, v28, v23
	v_pk_add_f32 v[34:35], v[14:15], v[34:35]
	v_mov_b32_e32 v40, v36
	v_mov_b32_e32 v41, v27
	v_pk_fma_f32 v[46:47], v[32:33], s[16:17], v[20:21] neg_lo:[0,0,1] neg_hi:[0,0,1]
	v_pk_fma_f32 v[20:21], v[32:33], s[16:17], v[20:21] op_sel_hi:[0,1,1]
	v_pk_add_f32 v[16:17], v[16:17], v[14:15] neg_lo:[0,1] neg_hi:[0,1]
	v_pk_add_f32 v[14:15], v[14:15], v[42:43]
	v_pk_mul_f32 v[8:9], v[8:9], s[12:13] op_sel_hi:[0,1]
	v_pk_add_f32 v[18:19], v[24:25], v[18:19]
	v_pk_fma_f32 v[40:41], v[44:45], s[0:1], v[40:41] op_sel_hi:[1,0,1]
	v_mov_b32_e32 v47, v21
	v_pk_fma_f32 v[4:5], v[14:15], 0.5, v[4:5] op_sel_hi:[1,0,1] neg_lo:[1,0,0] neg_hi:[1,0,0]
	v_pk_fma_f32 v[14:15], v[28:29], s[2:3], v[8:9] neg_lo:[0,0,1] neg_hi:[0,0,1]
	v_pk_fma_f32 v[8:9], v[28:29], s[2:3], v[8:9] op_sel_hi:[0,1,1]
	v_pk_add_f32 v[24:25], v[34:35], v[18:19]
	v_pk_add_f32 v[20:21], v[40:41], v[46:47]
	v_add_u32_e32 v1, 0x200, v117
	v_pk_add_f32 v[2:3], v[2:3], v[42:43] neg_lo:[0,1] neg_hi:[0,1]
	v_mov_b32_e32 v15, v9
	v_pk_mul_f32 v[8:9], v[38:39], s[24:25] op_sel_hi:[1,0]
	ds_write2_b64 v1, v[24:25], v[20:21] offset0:36 offset1:196
	v_pk_add_f32 v[2:3], v[16:17], v[2:3]
	v_pk_mul_f32 v[16:17], v[30:31], s[26:27] op_sel_hi:[1,0]
	v_pk_add_f32 v[20:21], v[4:5], v[8:9] op_sel:[0,1] op_sel_hi:[1,0]
	v_pk_add_f32 v[4:5], v[4:5], v[8:9] op_sel:[0,1] op_sel_hi:[1,0] neg_lo:[0,1] neg_hi:[0,1]
	v_pk_add_f32 v[8:9], v[20:21], v[16:17] op_sel:[0,1] op_sel_hi:[1,0] neg_lo:[0,1] neg_hi:[0,1]
	v_pk_add_f32 v[4:5], v[4:5], v[16:17] op_sel:[0,1] op_sel_hi:[1,0]
	v_mov_b32_e32 v16, v8
	v_mov_b32_e32 v17, v5
	v_pk_mul_f32 v[22:23], v[22:23], s[12:13] op_sel_hi:[0,1]
	v_mov_b32_e32 v5, v9
	v_pk_fma_f32 v[16:17], v[2:3], s[0:1], v[16:17] op_sel_hi:[1,0,1]
	v_pk_fma_f32 v[22:23], v[10:11], s[18:19], v[22:23] op_sel_hi:[0,1,1] neg_lo:[0,0,1] neg_hi:[0,0,1]
	v_pk_fma_f32 v[2:3], v[2:3], s[0:1], v[4:5] op_sel_hi:[1,0,1]
	v_pk_add_f32 v[20:21], v[16:17], v[14:15]
	v_pk_add_f32 v[4:5], v[2:3], v[22:23]
	v_add_u32_e32 v1, 0xc00, v117
	ds_write2_b64 v1, v[20:21], v[4:5] offset0:36 offset1:196
	v_pk_mul_f32 v[4:5], v[6:7], s[6:7] op_sel_hi:[0,1]
	v_mov_b32_e32 v27, v37
	v_pk_fma_f32 v[0:1], v[0:1], s[20:21], v[4:5] op_sel_hi:[0,1,1] neg_lo:[0,0,1] neg_hi:[0,0,1]
	v_pk_fma_f32 v[4:5], v[44:45], s[0:1], v[26:27] op_sel_hi:[1,0,1]
	v_pk_add_f32 v[18:19], v[34:35], v[18:19] neg_lo:[0,1] neg_hi:[0,1]
	v_pk_add_f32 v[8:9], v[4:5], v[0:1]
	v_add_u32_e32 v6, 0x1600, v117
	ds_write2_b64 v6, v[8:9], v[18:19] offset0:36 offset1:196
	v_pk_add_f32 v[8:9], v[40:41], v[46:47] neg_lo:[0,1] neg_hi:[0,1]
	v_pk_add_f32 v[14:15], v[16:17], v[14:15] neg_lo:[0,1] neg_hi:[0,1]
	v_add_u32_e32 v6, 0x2000, v117
	v_pk_add_f32 v[2:3], v[2:3], v[22:23] neg_lo:[0,1] neg_hi:[0,1]
	v_pk_add_f32 v[0:1], v[4:5], v[0:1] neg_lo:[0,1] neg_hi:[0,1]
	v_add_u32_e32 v4, 0x2a00, v117
	ds_write2_b64 v6, v[8:9], v[14:15] offset0:36 offset1:196
	ds_write2_b64 v4, v[2:3], v[0:1] offset0:36 offset1:196
.LBB0_21:
	s_or_b64 exec, exec, s[22:23]
	s_waitcnt lgkmcnt(0)
	s_barrier
	ds_read2_b64 v[0:3], v117 offset1:160
	v_mad_u64_u32 v[8:9], s[0:1], s10, v116, 0
	v_mov_b32_e32 v6, v9
	v_mad_u64_u32 v[14:15], s[0:1], s11, v116, v[6:7]
	s_waitcnt lgkmcnt(0)
	v_mul_f32_e32 v6, v133, v1
	v_fmac_f32_e32 v6, v132, v0
	v_mul_f32_e32 v0, v133, v0
	s_mov_b32 s0, 0x47ae147b
	v_fma_f32 v0, v132, v1, -v0
	v_mov_b32_e32 v9, v14
	v_cvt_f64_f32_e32 v[14:15], v6
	s_mov_b32 s1, 0x3f447ae1
	v_cvt_f64_f32_e32 v[0:1], v0
	v_mul_f64 v[14:15], v[14:15], s[0:1]
	v_mul_f64 v[0:1], v[0:1], s[0:1]
	v_cvt_f32_f64_e32 v14, v[14:15]
	v_cvt_f32_f64_e32 v15, v[0:1]
	v_mad_u64_u32 v[0:1], s[2:3], s8, v110, 0
	v_mov_b32_e32 v6, v1
	v_mov_b32_e32 v4, s14
	;; [unrolled: 1-line block ×3, first 2 shown]
	v_mad_u64_u32 v[16:17], s[2:3], s9, v110, v[6:7]
	v_mov_b32_e32 v1, v16
	v_lshl_add_u64 v[4:5], v[8:9], 3, v[4:5]
	v_lshl_add_u64 v[8:9], v[0:1], 3, v[4:5]
	v_mul_f32_e32 v0, v131, v3
	v_fmac_f32_e32 v0, v130, v2
	v_cvt_f64_f32_e32 v[0:1], v0
	v_mul_f64 v[0:1], v[0:1], s[0:1]
	global_store_dwordx2 v[8:9], v[14:15], off
	v_cvt_f32_f64_e32 v14, v[0:1]
	v_mul_f32_e32 v0, v131, v2
	v_fma_f32 v0, v130, v3, -v0
	v_cvt_f64_f32_e32 v[0:1], v0
	v_mul_f64 v[0:1], v[0:1], s[0:1]
	v_cvt_f32_f64_e32 v15, v[0:1]
	ds_read2_b64 v[0:3], v13 offset0:64 offset1:224
	s_mul_i32 s2, s9, 0xa0
	s_mul_hi_u32 s3, s8, 0xa0
	s_add_i32 s3, s3, s2
	s_mul_i32 s2, s8, 0xa0
	s_waitcnt lgkmcnt(0)
	v_mul_f32_e32 v6, v127, v1
	s_lshl_b64 s[2:3], s[2:3], 3
	v_fmac_f32_e32 v6, v126, v0
	v_mul_f32_e32 v0, v127, v0
	v_lshl_add_u64 v[8:9], v[8:9], 0, s[2:3]
	v_fma_f32 v0, v126, v1, -v0
	global_store_dwordx2 v[8:9], v[14:15], off
	v_cvt_f64_f32_e32 v[14:15], v6
	v_cvt_f64_f32_e32 v[0:1], v0
	v_mul_f64 v[14:15], v[14:15], s[0:1]
	v_mul_f64 v[0:1], v[0:1], s[0:1]
	v_cvt_f32_f64_e32 v14, v[14:15]
	v_cvt_f32_f64_e32 v15, v[0:1]
	v_mul_f32_e32 v0, v121, v3
	v_fmac_f32_e32 v0, v120, v2
	v_cvt_f64_f32_e32 v[0:1], v0
	v_lshl_add_u64 v[8:9], v[8:9], 0, s[2:3]
	v_mul_f64 v[0:1], v[0:1], s[0:1]
	global_store_dwordx2 v[8:9], v[14:15], off
	v_cvt_f32_f64_e32 v14, v[0:1]
	v_mul_f32_e32 v0, v121, v2
	v_fma_f32 v0, v120, v3, -v0
	v_cvt_f64_f32_e32 v[16:17], v0
	ds_read2_b64 v[0:3], v12 offset1:160
	v_mul_f64 v[12:13], v[16:17], s[0:1]
	v_cvt_f32_f64_e32 v15, v[12:13]
	v_lshl_add_u64 v[8:9], v[8:9], 0, s[2:3]
	global_store_dwordx2 v[8:9], v[14:15], off
	s_waitcnt lgkmcnt(0)
	v_mul_f32_e32 v6, v129, v1
	v_fmac_f32_e32 v6, v128, v0
	v_mul_f32_e32 v0, v129, v0
	v_fma_f32 v0, v128, v1, -v0
	v_cvt_f64_f32_e32 v[12:13], v6
	v_cvt_f64_f32_e32 v[0:1], v0
	v_mul_f64 v[12:13], v[12:13], s[0:1]
	v_mul_f64 v[0:1], v[0:1], s[0:1]
	v_cvt_f32_f64_e32 v12, v[12:13]
	v_cvt_f32_f64_e32 v13, v[0:1]
	v_mad_u64_u32 v[0:1], s[6:7], s8, v165, 0
	v_mov_b32_e32 v6, v1
	v_mad_u64_u32 v[14:15], s[6:7], s9, v165, v[6:7]
	v_mov_b32_e32 v1, v14
	v_lshl_add_u64 v[0:1], v[0:1], 3, v[4:5]
	global_store_dwordx2 v[0:1], v[12:13], off
	v_mul_f32_e32 v0, v125, v3
	v_fmac_f32_e32 v0, v124, v2
	v_cvt_f64_f32_e32 v[0:1], v0
	v_mul_f64 v[0:1], v[0:1], s[0:1]
	v_cvt_f32_f64_e32 v12, v[0:1]
	v_mul_f32_e32 v0, v125, v2
	v_fma_f32 v0, v124, v3, -v0
	v_cvt_f64_f32_e32 v[0:1], v0
	v_mul_f64 v[0:1], v[0:1], s[0:1]
	v_cvt_f32_f64_e32 v13, v[0:1]
	ds_read2_b64 v[0:3], v11 offset0:64 offset1:224
	v_mov_b32_e32 v14, 0xa00
	v_mad_u64_u32 v[8:9], s[6:7], s8, v14, v[8:9]
	s_mul_i32 s10, s9, 0xa00
	s_waitcnt lgkmcnt(0)
	v_mul_f32_e32 v6, v119, v1
	v_fmac_f32_e32 v6, v118, v0
	v_mul_f32_e32 v0, v119, v0
	v_fma_f32 v0, v118, v1, -v0
	v_cvt_f64_f32_e32 v[10:11], v6
	v_cvt_f64_f32_e32 v[0:1], v0
	v_mul_f64 v[10:11], v[10:11], s[0:1]
	v_mul_f64 v[0:1], v[0:1], s[0:1]
	v_cvt_f32_f64_e32 v10, v[10:11]
	v_cvt_f32_f64_e32 v11, v[0:1]
	v_mul_f32_e32 v0, v123, v3
	v_fmac_f32_e32 v0, v122, v2
	v_cvt_f64_f32_e32 v[0:1], v0
	v_mul_f64 v[0:1], v[0:1], s[0:1]
	v_add_u32_e32 v9, s10, v9
	v_cvt_f32_f64_e32 v6, v[0:1]
	v_mul_f32_e32 v0, v123, v2
	global_store_dwordx2 v[8:9], v[12:13], off
	v_lshl_add_u64 v[8:9], v[8:9], 0, s[2:3]
	v_fma_f32 v0, v122, v3, -v0
	global_store_dwordx2 v[8:9], v[10:11], off
	v_cvt_f64_f32_e32 v[10:11], v0
	ds_read2_b64 v[0:3], v7 offset1:160
	v_mul_f64 v[10:11], v[10:11], s[0:1]
	v_cvt_f32_f64_e32 v7, v[10:11]
	v_lshl_add_u64 v[8:9], v[8:9], 0, s[2:3]
	global_store_dwordx2 v[8:9], v[6:7], off
	s_waitcnt lgkmcnt(0)
	v_mul_f32_e32 v6, v115, v1
	v_fmac_f32_e32 v6, v114, v0
	v_mul_f32_e32 v0, v115, v0
	v_fma_f32 v0, v114, v1, -v0
	v_cvt_f64_f32_e32 v[6:7], v6
	v_cvt_f64_f32_e32 v[0:1], v0
	v_mul_f64 v[6:7], v[6:7], s[0:1]
	v_mul_f64 v[0:1], v[0:1], s[0:1]
	v_cvt_f32_f64_e32 v6, v[6:7]
	v_cvt_f32_f64_e32 v7, v[0:1]
	v_mad_u64_u32 v[0:1], s[6:7], s8, v164, 0
	v_mov_b32_e32 v10, v1
	v_mad_u64_u32 v[10:11], s[6:7], s9, v164, v[10:11]
	v_mov_b32_e32 v1, v10
	v_lshl_add_u64 v[0:1], v[0:1], 3, v[4:5]
	global_store_dwordx2 v[0:1], v[6:7], off
	v_mul_f32_e32 v0, v113, v3
	v_fmac_f32_e32 v0, v112, v2
	v_cvt_f64_f32_e32 v[0:1], v0
	v_mul_f64 v[0:1], v[0:1], s[0:1]
	v_cvt_f32_f64_e32 v4, v[0:1]
	v_mul_f32_e32 v0, v113, v2
	v_fma_f32 v0, v112, v3, -v0
	v_cvt_f64_f32_e32 v[0:1], v0
	v_mul_f64 v[0:1], v[0:1], s[0:1]
	v_cvt_f32_f64_e32 v5, v[0:1]
	v_mad_u64_u32 v[0:1], s[6:7], s8, v14, v[8:9]
	v_add_u32_e32 v1, s10, v1
	global_store_dwordx2 v[0:1], v[4:5], off
	s_and_b64 exec, exec, s[4:5]
	s_cbranch_execz .LBB0_23
; %bb.22:
	global_load_dwordx2 v[6:7], v[108:109], off offset:800
	v_add_u32_e32 v2, 0x200, v117
	ds_read2_b64 v[2:5], v2 offset0:36 offset1:196
	v_mov_b32_e32 v8, 0xffffd620
	v_mad_u64_u32 v[0:1], s[4:5], s8, v8, v[0:1]
	s_mul_i32 s6, s9, 0xffffd620
	s_sub_i32 s4, s6, s8
	v_add_u32_e32 v1, s4, v1
	s_movk_i32 s4, 0x1000
	s_waitcnt vmcnt(0) lgkmcnt(0)
	v_mul_f32_e32 v8, v3, v7
	v_mul_f32_e32 v7, v2, v7
	v_fmac_f32_e32 v8, v2, v6
	v_fma_f32 v6, v6, v3, -v7
	v_cvt_f64_f32_e32 v[2:3], v8
	v_cvt_f64_f32_e32 v[6:7], v6
	v_mul_f64 v[2:3], v[2:3], s[0:1]
	v_mul_f64 v[6:7], v[6:7], s[0:1]
	v_cvt_f32_f64_e32 v2, v[2:3]
	v_cvt_f32_f64_e32 v3, v[6:7]
	global_store_dwordx2 v[0:1], v[2:3], off
	global_load_dwordx2 v[2:3], v[108:109], off offset:2080
	v_lshl_add_u64 v[6:7], v[0:1], 0, s[2:3]
	v_add_co_u32_e32 v8, vcc, s4, v108
	s_movk_i32 s4, 0x2000
	s_nop 0
	v_addc_co_u32_e32 v9, vcc, 0, v109, vcc
	s_waitcnt vmcnt(0)
	v_mul_f32_e32 v0, v5, v3
	v_mul_f32_e32 v1, v4, v3
	v_fmac_f32_e32 v0, v4, v2
	v_fma_f32 v2, v2, v5, -v1
	v_cvt_f64_f32_e32 v[0:1], v0
	v_cvt_f64_f32_e32 v[2:3], v2
	v_mul_f64 v[0:1], v[0:1], s[0:1]
	v_mul_f64 v[2:3], v[2:3], s[0:1]
	v_cvt_f32_f64_e32 v0, v[0:1]
	v_cvt_f32_f64_e32 v1, v[2:3]
	global_store_dwordx2 v[6:7], v[0:1], off
	global_load_dwordx2 v[4:5], v[108:109], off offset:3360
	v_add_u32_e32 v0, 0xc00, v117
	ds_read2_b64 v[0:3], v0 offset0:36 offset1:196
	v_lshl_add_u64 v[6:7], v[6:7], 0, s[2:3]
	s_waitcnt vmcnt(0) lgkmcnt(0)
	v_mul_f32_e32 v10, v1, v5
	v_mul_f32_e32 v5, v0, v5
	v_fmac_f32_e32 v10, v0, v4
	v_fma_f32 v4, v4, v1, -v5
	v_cvt_f64_f32_e32 v[0:1], v10
	v_cvt_f64_f32_e32 v[4:5], v4
	v_mul_f64 v[0:1], v[0:1], s[0:1]
	v_mul_f64 v[4:5], v[4:5], s[0:1]
	v_cvt_f32_f64_e32 v0, v[0:1]
	v_cvt_f32_f64_e32 v1, v[4:5]
	global_store_dwordx2 v[6:7], v[0:1], off
	global_load_dwordx2 v[0:1], v[8:9], off offset:544
	v_lshl_add_u64 v[4:5], v[6:7], 0, s[2:3]
	s_waitcnt vmcnt(0)
	v_mul_f32_e32 v6, v3, v1
	v_mul_f32_e32 v1, v2, v1
	v_fmac_f32_e32 v6, v2, v0
	v_fma_f32 v2, v0, v3, -v1
	v_cvt_f64_f32_e32 v[0:1], v6
	v_cvt_f64_f32_e32 v[2:3], v2
	v_mul_f64 v[0:1], v[0:1], s[0:1]
	v_mul_f64 v[2:3], v[2:3], s[0:1]
	v_cvt_f32_f64_e32 v0, v[0:1]
	v_cvt_f32_f64_e32 v1, v[2:3]
	global_store_dwordx2 v[4:5], v[0:1], off
	global_load_dwordx2 v[6:7], v[8:9], off offset:1824
	v_add_u32_e32 v0, 0x1600, v117
	ds_read2_b64 v[0:3], v0 offset0:36 offset1:196
	v_lshl_add_u64 v[4:5], v[4:5], 0, s[2:3]
	s_waitcnt vmcnt(0) lgkmcnt(0)
	v_mul_f32_e32 v10, v1, v7
	v_mul_f32_e32 v7, v0, v7
	v_fmac_f32_e32 v10, v0, v6
	v_fma_f32 v6, v6, v1, -v7
	v_cvt_f64_f32_e32 v[0:1], v10
	v_cvt_f64_f32_e32 v[6:7], v6
	v_mul_f64 v[0:1], v[0:1], s[0:1]
	v_mul_f64 v[6:7], v[6:7], s[0:1]
	v_cvt_f32_f64_e32 v0, v[0:1]
	v_cvt_f32_f64_e32 v1, v[6:7]
	global_store_dwordx2 v[4:5], v[0:1], off
	global_load_dwordx2 v[0:1], v[8:9], off offset:3104
	v_add_co_u32_e32 v6, vcc, s4, v108
	v_lshl_add_u64 v[4:5], v[4:5], 0, s[2:3]
	s_nop 0
	v_addc_co_u32_e32 v7, vcc, 0, v109, vcc
	s_movk_i32 s4, 0x3000
	s_waitcnt vmcnt(0)
	v_mul_f32_e32 v8, v3, v1
	v_mul_f32_e32 v1, v2, v1
	v_fmac_f32_e32 v8, v2, v0
	v_fma_f32 v2, v0, v3, -v1
	v_cvt_f64_f32_e32 v[0:1], v8
	v_cvt_f64_f32_e32 v[2:3], v2
	v_mul_f64 v[0:1], v[0:1], s[0:1]
	v_mul_f64 v[2:3], v[2:3], s[0:1]
	v_cvt_f32_f64_e32 v0, v[0:1]
	v_cvt_f32_f64_e32 v1, v[2:3]
	global_store_dwordx2 v[4:5], v[0:1], off
	global_load_dwordx2 v[8:9], v[6:7], off offset:288
	v_add_u32_e32 v0, 0x2000, v117
	ds_read2_b64 v[0:3], v0 offset0:36 offset1:196
	v_lshl_add_u64 v[4:5], v[4:5], 0, s[2:3]
	s_waitcnt vmcnt(0) lgkmcnt(0)
	v_mul_f32_e32 v10, v1, v9
	v_mul_f32_e32 v9, v0, v9
	v_fmac_f32_e32 v10, v0, v8
	v_fma_f32 v8, v8, v1, -v9
	v_cvt_f64_f32_e32 v[0:1], v10
	v_cvt_f64_f32_e32 v[8:9], v8
	v_mul_f64 v[0:1], v[0:1], s[0:1]
	v_mul_f64 v[8:9], v[8:9], s[0:1]
	v_cvt_f32_f64_e32 v0, v[0:1]
	v_cvt_f32_f64_e32 v1, v[8:9]
	global_store_dwordx2 v[4:5], v[0:1], off
	global_load_dwordx2 v[0:1], v[6:7], off offset:1568
	v_lshl_add_u64 v[4:5], v[4:5], 0, s[2:3]
	s_waitcnt vmcnt(0)
	v_mul_f32_e32 v8, v3, v1
	v_mul_f32_e32 v1, v2, v1
	v_fmac_f32_e32 v8, v2, v0
	v_fma_f32 v2, v0, v3, -v1
	v_cvt_f64_f32_e32 v[0:1], v8
	v_cvt_f64_f32_e32 v[2:3], v2
	v_mul_f64 v[0:1], v[0:1], s[0:1]
	v_mul_f64 v[2:3], v[2:3], s[0:1]
	v_cvt_f32_f64_e32 v0, v[0:1]
	v_cvt_f32_f64_e32 v1, v[2:3]
	global_store_dwordx2 v[4:5], v[0:1], off
	global_load_dwordx2 v[6:7], v[6:7], off offset:2848
	v_add_u32_e32 v0, 0x2a00, v117
	ds_read2_b64 v[0:3], v0 offset0:36 offset1:196
	v_add_co_u32_e32 v8, vcc, s4, v108
	v_lshl_add_u64 v[4:5], v[4:5], 0, s[2:3]
	s_nop 0
	v_addc_co_u32_e32 v9, vcc, 0, v109, vcc
	s_waitcnt vmcnt(0) lgkmcnt(0)
	v_mul_f32_e32 v10, v1, v7
	v_mul_f32_e32 v7, v0, v7
	v_fmac_f32_e32 v10, v0, v6
	v_fma_f32 v6, v6, v1, -v7
	v_cvt_f64_f32_e32 v[0:1], v10
	v_cvt_f64_f32_e32 v[6:7], v6
	v_mul_f64 v[0:1], v[0:1], s[0:1]
	v_mul_f64 v[6:7], v[6:7], s[0:1]
	v_cvt_f32_f64_e32 v0, v[0:1]
	v_cvt_f32_f64_e32 v1, v[6:7]
	global_store_dwordx2 v[4:5], v[0:1], off
	global_load_dwordx2 v[0:1], v[8:9], off offset:32
	s_waitcnt vmcnt(0)
	v_mul_f32_e32 v6, v3, v1
	v_mul_f32_e32 v1, v2, v1
	v_fmac_f32_e32 v6, v2, v0
	v_fma_f32 v2, v0, v3, -v1
	v_cvt_f64_f32_e32 v[0:1], v6
	v_cvt_f64_f32_e32 v[2:3], v2
	v_mul_f64 v[0:1], v[0:1], s[0:1]
	v_mul_f64 v[2:3], v[2:3], s[0:1]
	v_cvt_f32_f64_e32 v0, v[0:1]
	v_cvt_f32_f64_e32 v1, v[2:3]
	v_lshl_add_u64 v[2:3], v[4:5], 0, s[2:3]
	global_store_dwordx2 v[2:3], v[0:1], off
.LBB0_23:
	s_endpgm
	.section	.rodata,"a",@progbits
	.p2align	6, 0x0
	.amdhsa_kernel bluestein_single_back_len1600_dim1_sp_op_CI_CI
		.amdhsa_group_segment_fixed_size 25600
		.amdhsa_private_segment_fixed_size 0
		.amdhsa_kernarg_size 104
		.amdhsa_user_sgpr_count 2
		.amdhsa_user_sgpr_dispatch_ptr 0
		.amdhsa_user_sgpr_queue_ptr 0
		.amdhsa_user_sgpr_kernarg_segment_ptr 1
		.amdhsa_user_sgpr_dispatch_id 0
		.amdhsa_user_sgpr_kernarg_preload_length 0
		.amdhsa_user_sgpr_kernarg_preload_offset 0
		.amdhsa_user_sgpr_private_segment_size 0
		.amdhsa_uses_dynamic_stack 0
		.amdhsa_enable_private_segment 0
		.amdhsa_system_sgpr_workgroup_id_x 1
		.amdhsa_system_sgpr_workgroup_id_y 0
		.amdhsa_system_sgpr_workgroup_id_z 0
		.amdhsa_system_sgpr_workgroup_info 0
		.amdhsa_system_vgpr_workitem_id 0
		.amdhsa_next_free_vgpr 203
		.amdhsa_next_free_sgpr 28
		.amdhsa_accum_offset 204
		.amdhsa_reserve_vcc 1
		.amdhsa_float_round_mode_32 0
		.amdhsa_float_round_mode_16_64 0
		.amdhsa_float_denorm_mode_32 3
		.amdhsa_float_denorm_mode_16_64 3
		.amdhsa_dx10_clamp 1
		.amdhsa_ieee_mode 1
		.amdhsa_fp16_overflow 0
		.amdhsa_tg_split 0
		.amdhsa_exception_fp_ieee_invalid_op 0
		.amdhsa_exception_fp_denorm_src 0
		.amdhsa_exception_fp_ieee_div_zero 0
		.amdhsa_exception_fp_ieee_overflow 0
		.amdhsa_exception_fp_ieee_underflow 0
		.amdhsa_exception_fp_ieee_inexact 0
		.amdhsa_exception_int_div_zero 0
	.end_amdhsa_kernel
	.text
.Lfunc_end0:
	.size	bluestein_single_back_len1600_dim1_sp_op_CI_CI, .Lfunc_end0-bluestein_single_back_len1600_dim1_sp_op_CI_CI
                                        ; -- End function
	.section	.AMDGPU.csdata,"",@progbits
; Kernel info:
; codeLenInByte = 17784
; NumSgprs: 34
; NumVgprs: 203
; NumAgprs: 0
; TotalNumVgprs: 203
; ScratchSize: 0
; MemoryBound: 0
; FloatMode: 240
; IeeeMode: 1
; LDSByteSize: 25600 bytes/workgroup (compile time only)
; SGPRBlocks: 4
; VGPRBlocks: 25
; NumSGPRsForWavesPerEU: 34
; NumVGPRsForWavesPerEU: 203
; AccumOffset: 204
; Occupancy: 2
; WaveLimiterHint : 1
; COMPUTE_PGM_RSRC2:SCRATCH_EN: 0
; COMPUTE_PGM_RSRC2:USER_SGPR: 2
; COMPUTE_PGM_RSRC2:TRAP_HANDLER: 0
; COMPUTE_PGM_RSRC2:TGID_X_EN: 1
; COMPUTE_PGM_RSRC2:TGID_Y_EN: 0
; COMPUTE_PGM_RSRC2:TGID_Z_EN: 0
; COMPUTE_PGM_RSRC2:TIDIG_COMP_CNT: 0
; COMPUTE_PGM_RSRC3_GFX90A:ACCUM_OFFSET: 50
; COMPUTE_PGM_RSRC3_GFX90A:TG_SPLIT: 0
	.text
	.p2alignl 6, 3212836864
	.fill 256, 4, 3212836864
	.type	__hip_cuid_3babb7b03dcebfb9,@object ; @__hip_cuid_3babb7b03dcebfb9
	.section	.bss,"aw",@nobits
	.globl	__hip_cuid_3babb7b03dcebfb9
__hip_cuid_3babb7b03dcebfb9:
	.byte	0                               ; 0x0
	.size	__hip_cuid_3babb7b03dcebfb9, 1

	.ident	"AMD clang version 19.0.0git (https://github.com/RadeonOpenCompute/llvm-project roc-6.4.0 25133 c7fe45cf4b819c5991fe208aaa96edf142730f1d)"
	.section	".note.GNU-stack","",@progbits
	.addrsig
	.addrsig_sym __hip_cuid_3babb7b03dcebfb9
	.amdgpu_metadata
---
amdhsa.kernels:
  - .agpr_count:     0
    .args:
      - .actual_access:  read_only
        .address_space:  global
        .offset:         0
        .size:           8
        .value_kind:     global_buffer
      - .actual_access:  read_only
        .address_space:  global
        .offset:         8
        .size:           8
        .value_kind:     global_buffer
      - .actual_access:  read_only
        .address_space:  global
        .offset:         16
        .size:           8
        .value_kind:     global_buffer
      - .actual_access:  read_only
        .address_space:  global
        .offset:         24
        .size:           8
        .value_kind:     global_buffer
      - .actual_access:  read_only
        .address_space:  global
        .offset:         32
        .size:           8
        .value_kind:     global_buffer
      - .offset:         40
        .size:           8
        .value_kind:     by_value
      - .address_space:  global
        .offset:         48
        .size:           8
        .value_kind:     global_buffer
      - .address_space:  global
        .offset:         56
        .size:           8
        .value_kind:     global_buffer
      - .address_space:  global
        .offset:         64
        .size:           8
        .value_kind:     global_buffer
      - .address_space:  global
        .offset:         72
        .size:           8
        .value_kind:     global_buffer
      - .offset:         80
        .size:           4
        .value_kind:     by_value
      - .address_space:  global
        .offset:         88
        .size:           8
        .value_kind:     global_buffer
      - .address_space:  global
        .offset:         96
        .size:           8
        .value_kind:     global_buffer
    .group_segment_fixed_size: 25600
    .kernarg_segment_align: 8
    .kernarg_segment_size: 104
    .language:       OpenCL C
    .language_version:
      - 2
      - 0
    .max_flat_workgroup_size: 200
    .name:           bluestein_single_back_len1600_dim1_sp_op_CI_CI
    .private_segment_fixed_size: 0
    .sgpr_count:     34
    .sgpr_spill_count: 0
    .symbol:         bluestein_single_back_len1600_dim1_sp_op_CI_CI.kd
    .uniform_work_group_size: 1
    .uses_dynamic_stack: false
    .vgpr_count:     203
    .vgpr_spill_count: 0
    .wavefront_size: 64
amdhsa.target:   amdgcn-amd-amdhsa--gfx950
amdhsa.version:
  - 1
  - 2
...

	.end_amdgpu_metadata
